;; amdgpu-corpus repo=ROCm/rocFFT kind=compiled arch=gfx1201 opt=O3
	.text
	.amdgcn_target "amdgcn-amd-amdhsa--gfx1201"
	.amdhsa_code_object_version 6
	.protected	bluestein_single_fwd_len135_dim1_dp_op_CI_CI ; -- Begin function bluestein_single_fwd_len135_dim1_dp_op_CI_CI
	.globl	bluestein_single_fwd_len135_dim1_dp_op_CI_CI
	.p2align	8
	.type	bluestein_single_fwd_len135_dim1_dp_op_CI_CI,@function
bluestein_single_fwd_len135_dim1_dp_op_CI_CI: ; @bluestein_single_fwd_len135_dim1_dp_op_CI_CI
; %bb.0:
	s_load_b128 s[16:19], s[0:1], 0x28
	v_mul_u32_u24_e32 v1, 0x1c72, v0
	s_mov_b32 s2, exec_lo
	s_delay_alu instid0(VALU_DEP_1) | instskip(NEXT) | instid1(VALU_DEP_1)
	v_lshrrev_b32_e32 v1, 16, v1
	v_mad_co_u64_u32 v[180:181], null, ttmp9, 14, v[1:2]
	v_mov_b32_e32 v181, 0
	s_wait_kmcnt 0x0
	s_delay_alu instid0(VALU_DEP_1)
	v_cmpx_gt_u64_e64 s[16:17], v[180:181]
	s_cbranch_execz .LBB0_2
; %bb.1:
	s_clause 0x1
	s_load_b128 s[4:7], s[0:1], 0x18
	s_load_b128 s[8:11], s[0:1], 0x0
	v_mul_lo_u16 v1, v1, 9
	s_mov_b32 s20, 0x134454ff
	s_mov_b32 s21, 0x3fee6f0e
	;; [unrolled: 1-line block ×4, first 2 shown]
	v_sub_nc_u16 v144, v0, v1
	s_mov_b32 s17, 0xbfe2cf23
	s_load_b64 s[0:1], s[0:1], 0x38
	s_delay_alu instid0(VALU_DEP_1)
	v_and_b32_e32 v174, 0xffff, v144
	s_wait_kmcnt 0x0
	s_load_b128 s[12:15], s[4:5], 0x0
	s_wait_kmcnt 0x0
	v_mad_co_u64_u32 v[0:1], null, s14, v180, 0
	v_mad_co_u64_u32 v[2:3], null, s12, v174, 0
	s_mul_u64 s[2:3], s[12:13], 0x1b0
	s_mul_i32 s4, s13, 0xfffff9d0
	s_delay_alu instid0(SALU_CYCLE_1) | instskip(NEXT) | instid1(VALU_DEP_1)
	s_sub_co_i32 s4, s4, s12
	v_mad_co_u64_u32 v[4:5], null, s15, v180, v[1:2]
	s_mov_b32 s14, 0x4755a5e
	s_mov_b32 s15, 0x3fe2cf23
	s_wait_alu 0xfffe
	s_mov_b32 s16, s14
	s_delay_alu instid0(VALU_DEP_1) | instskip(SKIP_3) | instid1(VALU_DEP_3)
	v_mov_b32_e32 v1, v4
	v_mad_co_u64_u32 v[5:6], null, s13, v174, v[3:4]
	v_lshlrev_b32_e32 v183, 4, v174
	s_mov_b32 s13, 0xbfebb67a
	v_lshlrev_b64_e32 v[0:1], 4, v[0:1]
	s_delay_alu instid0(VALU_DEP_3) | instskip(NEXT) | instid1(VALU_DEP_2)
	v_mov_b32_e32 v3, v5
	v_add_co_u32 v0, vcc_lo, s18, v0
	s_delay_alu instid0(VALU_DEP_3) | instskip(NEXT) | instid1(VALU_DEP_3)
	v_add_co_ci_u32_e32 v1, vcc_lo, s19, v1, vcc_lo
	v_lshlrev_b64_e32 v[2:3], 4, v[2:3]
	s_mov_b32 s18, 0x372fe950
	s_mov_b32 s19, 0x3fd3c6ef
	s_delay_alu instid0(VALU_DEP_1) | instskip(SKIP_1) | instid1(VALU_DEP_2)
	v_add_co_u32 v0, vcc_lo, v0, v2
	s_wait_alu 0xfffd
	v_add_co_ci_u32_e32 v1, vcc_lo, v1, v3, vcc_lo
	global_load_b128 v[2:5], v183, s[8:9]
	global_load_b128 v[12:15], v[0:1], off
	v_add_co_u32 v0, vcc_lo, v0, s2
	s_wait_alu 0xfffd
	v_add_co_ci_u32_e32 v1, vcc_lo, s3, v1, vcc_lo
	s_delay_alu instid0(VALU_DEP_2) | instskip(SKIP_1) | instid1(VALU_DEP_2)
	v_add_co_u32 v24, vcc_lo, v0, s2
	s_wait_alu 0xfffd
	v_add_co_ci_u32_e32 v25, vcc_lo, s3, v1, vcc_lo
	s_wait_loadcnt 0x1
	v_mov_b32_e32 v7, v5
	v_mov_b32_e32 v6, v4
	global_load_b128 v[8:11], v183, s[8:9] offset:432
	global_load_b128 v[20:23], v[0:1], off
	global_load_b128 v[26:29], v183, s[8:9] offset:864
	global_load_b128 v[16:19], v[24:25], off
	v_mov_b32_e32 v5, v3
	v_mov_b32_e32 v4, v2
	s_wait_loadcnt 0x4
	v_mul_f64_e32 v[0:1], v[14:15], v[6:7]
	v_mul_f64_e32 v[2:3], v[12:13], v[6:7]
	scratch_store_b128 off, v[4:7], off offset:224 ; 16-byte Folded Spill
	v_fma_f64 v[60:61], v[12:13], v[4:5], v[0:1]
	v_fma_f64 v[62:63], v[14:15], v[4:5], -v[2:3]
	v_add_co_u32 v4, vcc_lo, v24, s2
	s_wait_alu 0xfffd
	v_add_co_ci_u32_e32 v5, vcc_lo, s3, v25, vcc_lo
	s_wait_loadcnt 0x3
	scratch_store_b128 off, v[8:11], off    ; 16-byte Folded Spill
	s_wait_loadcnt 0x1
	scratch_store_b128 off, v[26:29], off offset:16 ; 16-byte Folded Spill
	v_mul_f64_e32 v[0:1], v[22:23], v[10:11]
	v_mul_f64_e32 v[2:3], v[20:21], v[10:11]
	s_delay_alu instid0(VALU_DEP_2) | instskip(NEXT) | instid1(VALU_DEP_2)
	v_fma_f64 v[64:65], v[20:21], v[8:9], v[0:1]
	v_fma_f64 v[66:67], v[22:23], v[8:9], -v[2:3]
	s_wait_loadcnt 0x0
	v_mul_f64_e32 v[0:1], v[18:19], v[28:29]
	v_mul_f64_e32 v[2:3], v[16:17], v[28:29]
	global_load_b128 v[6:9], v183, s[8:9] offset:1296
	v_fma_f64 v[68:69], v[16:17], v[26:27], v[0:1]
	v_fma_f64 v[70:71], v[18:19], v[26:27], -v[2:3]
	global_load_b128 v[16:19], v[4:5], off
	s_wait_loadcnt 0x1
	scratch_store_b128 off, v[6:9], off offset:32 ; 16-byte Folded Spill
	s_wait_loadcnt 0x0
	v_mul_f64_e32 v[0:1], v[18:19], v[8:9]
	v_mul_f64_e32 v[2:3], v[16:17], v[8:9]
	s_delay_alu instid0(VALU_DEP_2) | instskip(SKIP_3) | instid1(VALU_DEP_4)
	v_fma_f64 v[72:73], v[16:17], v[6:7], v[0:1]
	v_add_co_u32 v0, vcc_lo, v4, s2
	s_wait_alu 0xfffd
	v_add_co_ci_u32_e32 v1, vcc_lo, s3, v5, vcc_lo
	v_fma_f64 v[74:75], v[18:19], v[6:7], -v[2:3]
	global_load_b128 v[6:9], v183, s[8:9] offset:1728
	global_load_b128 v[20:23], v[0:1], off
	v_mad_co_u64_u32 v[0:1], null, 0xfffff9d0, s12, v[0:1]
	s_delay_alu instid0(VALU_DEP_1)
	v_add_nc_u32_e32 v1, s4, v1
	global_load_b128 v[24:27], v[0:1], off
	v_add_co_u32 v0, vcc_lo, v0, s2
	s_wait_alu 0xfffd
	v_add_co_ci_u32_e32 v1, vcc_lo, s3, v1, vcc_lo
	global_load_b128 v[28:31], v[0:1], off
	v_add_co_u32 v0, vcc_lo, v0, s2
	s_wait_alu 0xfffd
	v_add_co_ci_u32_e32 v1, vcc_lo, s3, v1, vcc_lo
	;; [unrolled: 4-line block ×4, first 2 shown]
	global_load_b128 v[40:43], v[0:1], off
	v_mad_co_u64_u32 v[0:1], null, 0xfffff9d0, s12, v[0:1]
	s_delay_alu instid0(VALU_DEP_1)
	v_add_nc_u32_e32 v1, s4, v1
	global_load_b128 v[44:47], v[0:1], off
	v_add_co_u32 v0, vcc_lo, v0, s2
	s_wait_alu 0xfffd
	v_add_co_ci_u32_e32 v1, vcc_lo, s3, v1, vcc_lo
	global_load_b128 v[48:51], v[0:1], off
	v_add_co_u32 v0, vcc_lo, v0, s2
	s_wait_alu 0xfffd
	v_add_co_ci_u32_e32 v1, vcc_lo, s3, v1, vcc_lo
	;; [unrolled: 4-line block ×4, first 2 shown]
	v_cmp_gt_u16_e64 vcc_lo, 5, v144
	s_wait_loadcnt 0xa
	scratch_store_b128 off, v[6:9], off offset:48 ; 16-byte Folded Spill
	s_wait_loadcnt 0x9
	v_mul_f64_e32 v[2:3], v[22:23], v[8:9]
	v_mul_f64_e32 v[4:5], v[20:21], v[8:9]
	s_delay_alu instid0(VALU_DEP_2) | instskip(NEXT) | instid1(VALU_DEP_2)
	v_fma_f64 v[76:77], v[20:21], v[6:7], v[2:3]
	v_fma_f64 v[78:79], v[22:23], v[6:7], -v[4:5]
	global_load_b128 v[6:9], v183, s[8:9] offset:144
	s_wait_loadcnt 0x0
	v_mul_f64_e32 v[2:3], v[26:27], v[8:9]
	v_mul_f64_e32 v[4:5], v[24:25], v[8:9]
	scratch_store_b128 off, v[6:9], off offset:64 ; 16-byte Folded Spill
	v_fma_f64 v[80:81], v[24:25], v[6:7], v[2:3]
	v_fma_f64 v[82:83], v[26:27], v[6:7], -v[4:5]
	global_load_b128 v[6:9], v183, s[8:9] offset:576
	s_wait_loadcnt 0x0
	v_mul_f64_e32 v[2:3], v[30:31], v[8:9]
	v_mul_f64_e32 v[4:5], v[28:29], v[8:9]
	scratch_store_b128 off, v[6:9], off offset:80 ; 16-byte Folded Spill
	;; [unrolled: 7-line block ×9, first 2 shown]
	v_fma_f64 v[112:113], v[56:57], v[6:7], v[2:3]
	v_fma_f64 v[114:115], v[58:59], v[6:7], -v[4:5]
	global_load_b128 v[116:119], v[0:1], off
	global_load_b128 v[4:7], v183, s[8:9] offset:2016
	s_wait_loadcnt 0x0
	v_mul_f64_e32 v[0:1], v[118:119], v[6:7]
	v_mul_f64_e32 v[2:3], v[116:117], v[6:7]
	scratch_store_b128 off, v[4:7], off offset:208 ; 16-byte Folded Spill
	v_fma_f64 v[116:117], v[116:117], v[4:5], v[0:1]
	v_lshrrev_b32_e32 v0, 1, v180
	v_fma_f64 v[118:119], v[118:119], v[4:5], -v[2:3]
	s_delay_alu instid0(VALU_DEP_2) | instskip(NEXT) | instid1(VALU_DEP_1)
	v_mul_hi_u32 v0, 0x92492493, v0
	v_lshrrev_b32_e32 v0, 2, v0
	s_delay_alu instid0(VALU_DEP_1) | instskip(NEXT) | instid1(VALU_DEP_1)
	v_mul_lo_u32 v0, v0, 14
	v_sub_nc_u32_e32 v0, v180, v0
	s_delay_alu instid0(VALU_DEP_1) | instskip(NEXT) | instid1(VALU_DEP_1)
	v_mul_u32_u24_e32 v0, 0x87, v0
	v_lshlrev_b32_e32 v145, 4, v0
	s_delay_alu instid0(VALU_DEP_1)
	v_add_nc_u32_e32 v182, v183, v145
	ds_store_b128 v182, v[60:63]
	ds_store_b128 v182, v[64:67] offset:432
	ds_store_b128 v182, v[68:71] offset:864
	;; [unrolled: 1-line block ×14, first 2 shown]
	s_load_b128 s[4:7], s[6:7], 0x0
	global_wb scope:SCOPE_SE
	s_wait_storecnt_dscnt 0x0
	s_wait_kmcnt 0x0
	s_barrier_signal -1
	s_barrier_wait -1
	global_inv scope:SCOPE_SE
	ds_load_b128 v[60:63], v182
	ds_load_b128 v[64:67], v182 offset:432
	ds_load_b128 v[68:71], v182 offset:1728
	;; [unrolled: 1-line block ×3, first 2 shown]
	s_wait_dscnt 0x2
	v_add_f64_e32 v[0:1], v[60:61], v[64:65]
	v_add_f64_e32 v[2:3], v[62:63], v[66:67]
	s_wait_dscnt 0x1
	v_add_f64_e32 v[4:5], v[64:65], v[68:69]
	v_add_f64_e64 v[6:7], v[66:67], -v[70:71]
	v_add_f64_e32 v[8:9], v[66:67], v[70:71]
	s_wait_dscnt 0x0
	v_add_f64_e64 v[10:11], v[64:65], -v[72:73]
	v_add_f64_e64 v[12:13], v[72:73], -v[64:65]
	;; [unrolled: 1-line block ×5, first 2 shown]
	ds_load_b128 v[64:67], v182 offset:1296
	s_wait_dscnt 0x0
	v_add_f64_e32 v[92:93], v[72:73], v[64:65]
	v_add_f64_e32 v[94:95], v[74:75], v[66:67]
	v_add_f64_e64 v[96:97], v[74:75], -v[66:67]
	v_add_f64_e64 v[98:99], v[72:73], -v[64:65]
	;; [unrolled: 1-line block ×6, first 2 shown]
	v_add_f64_e32 v[0:1], v[0:1], v[72:73]
	v_add_f64_e32 v[2:3], v[2:3], v[74:75]
	v_fma_f64 v[8:9], v[8:9], -0.5, v[62:63]
	v_add_f64_e32 v[10:11], v[10:11], v[100:101]
	v_add_f64_e32 v[16:17], v[16:17], v[104:105]
	;; [unrolled: 1-line block ×4, first 2 shown]
	s_delay_alu instid0(VALU_DEP_2) | instskip(NEXT) | instid1(VALU_DEP_2)
	v_add_f64_e32 v[64:65], v[0:1], v[68:69]
	v_add_f64_e32 v[66:67], v[2:3], v[70:71]
	ds_load_b128 v[68:71], v182 offset:576
	ds_load_b128 v[72:75], v182 offset:144
	;; [unrolled: 1-line block ×4, first 2 shown]
	s_wait_dscnt 0x2
	v_add_f64_e32 v[0:1], v[72:73], v[68:69]
	v_add_f64_e32 v[2:3], v[74:75], v[70:71]
	s_wait_dscnt 0x1
	v_add_f64_e32 v[108:109], v[68:69], v[76:77]
	v_add_f64_e32 v[110:111], v[70:71], v[78:79]
	v_add_f64_e64 v[112:113], v[70:71], -v[78:79]
	s_wait_dscnt 0x0
	v_add_f64_e64 v[114:115], v[68:69], -v[80:81]
	v_add_f64_e64 v[116:117], v[80:81], -v[68:69]
	;; [unrolled: 1-line block ×5, first 2 shown]
	ds_load_b128 v[68:71], v182 offset:1440
	s_wait_dscnt 0x0
	v_add_f64_e32 v[124:125], v[80:81], v[68:69]
	v_add_f64_e32 v[126:127], v[82:83], v[70:71]
	v_add_f64_e64 v[128:129], v[82:83], -v[70:71]
	v_add_f64_e64 v[130:131], v[80:81], -v[68:69]
	;; [unrolled: 1-line block ×6, first 2 shown]
	v_add_f64_e32 v[0:1], v[0:1], v[80:81]
	v_add_f64_e32 v[2:3], v[2:3], v[82:83]
	v_fma_f64 v[108:109], v[108:109], -0.5, v[72:73]
	v_fma_f64 v[110:111], v[110:111], -0.5, v[74:75]
	s_delay_alu instid0(VALU_DEP_4) | instskip(NEXT) | instid1(VALU_DEP_4)
	v_add_f64_e32 v[0:1], v[0:1], v[68:69]
	v_add_f64_e32 v[2:3], v[2:3], v[70:71]
	s_delay_alu instid0(VALU_DEP_2) | instskip(NEXT) | instid1(VALU_DEP_2)
	v_add_f64_e32 v[68:69], v[0:1], v[76:77]
	v_add_f64_e32 v[70:71], v[2:3], v[78:79]
	ds_load_b128 v[76:79], v182 offset:720
	ds_load_b128 v[80:83], v182 offset:288
	;; [unrolled: 1-line block ×4, first 2 shown]
	s_wait_dscnt 0x2
	v_add_f64_e32 v[2:3], v[82:83], v[78:79]
	v_add_f64_e32 v[0:1], v[80:81], v[76:77]
	s_wait_dscnt 0x1
	v_add_f64_e32 v[140:141], v[76:77], v[84:85]
	v_add_f64_e32 v[142:143], v[78:79], v[86:87]
	v_add_f64_e64 v[146:147], v[78:79], -v[86:87]
	s_wait_dscnt 0x0
	v_add_f64_e64 v[148:149], v[76:77], -v[88:89]
	v_add_f64_e64 v[150:151], v[76:77], -v[84:85]
	;; [unrolled: 1-line block ×5, first 2 shown]
	ds_load_b128 v[76:79], v182 offset:1584
	global_wb scope:SCOPE_SE
	s_wait_dscnt 0x0
	s_barrier_signal -1
	s_barrier_wait -1
	global_inv scope:SCOPE_SE
	v_add_f64_e32 v[160:161], v[90:91], v[78:79]
	v_add_f64_e64 v[162:163], v[90:91], -v[78:79]
	v_add_f64_e64 v[170:171], v[86:87], -v[78:79]
	;; [unrolled: 1-line block ×3, first 2 shown]
	v_add_f64_e32 v[158:159], v[88:89], v[76:77]
	v_add_f64_e64 v[164:165], v[88:89], -v[76:77]
	v_add_f64_e64 v[166:167], v[84:85], -v[76:77]
	;; [unrolled: 1-line block ×3, first 2 shown]
	v_add_f64_e32 v[2:3], v[2:3], v[90:91]
	v_add_f64_e32 v[0:1], v[0:1], v[88:89]
	v_fma_f64 v[142:143], v[142:143], -0.5, v[82:83]
	s_delay_alu instid0(VALU_DEP_3) | instskip(NEXT) | instid1(VALU_DEP_3)
	v_add_f64_e32 v[2:3], v[2:3], v[78:79]
	v_add_f64_e32 v[0:1], v[0:1], v[76:77]
	s_delay_alu instid0(VALU_DEP_2) | instskip(SKIP_2) | instid1(VALU_DEP_4)
	v_add_f64_e32 v[78:79], v[2:3], v[86:87]
	v_fma_f64 v[2:3], v[4:5], -0.5, v[60:61]
	v_fma_f64 v[4:5], v[94:95], -0.5, v[62:63]
	v_add_f64_e32 v[76:77], v[0:1], v[84:85]
	v_fma_f64 v[0:1], v[92:93], -0.5, v[60:61]
	v_fma_f64 v[94:95], v[126:127], -0.5, v[74:75]
	;; [unrolled: 1-line block ×6, first 2 shown]
	v_fma_f64 v[62:63], v[14:15], s[22:23], v[4:5]
	v_fma_f64 v[4:5], v[14:15], s[20:21], v[4:5]
	v_fma_f64 v[60:61], v[6:7], s[20:21], v[0:1]
	v_fma_f64 v[0:1], v[6:7], s[22:23], v[0:1]
	s_delay_alu instid0(VALU_DEP_4) | instskip(NEXT) | instid1(VALU_DEP_4)
	v_fma_f64 v[62:63], v[98:99], s[16:17], v[62:63]
	v_fma_f64 v[4:5], v[98:99], s[14:15], v[4:5]
	s_delay_alu instid0(VALU_DEP_4) | instskip(NEXT) | instid1(VALU_DEP_4)
	v_fma_f64 v[60:61], v[96:97], s[14:15], v[60:61]
	v_fma_f64 v[0:1], v[96:97], s[16:17], v[0:1]
	s_delay_alu instid0(VALU_DEP_4) | instskip(NEXT) | instid1(VALU_DEP_4)
	v_fma_f64 v[62:63], v[16:17], s[18:19], v[62:63]
	v_fma_f64 v[74:75], v[16:17], s[18:19], v[4:5]
	v_fma_f64 v[4:5], v[98:99], s[20:21], v[8:9]
	s_delay_alu instid0(VALU_DEP_4)
	v_fma_f64 v[72:73], v[10:11], s[18:19], v[0:1]
	v_fma_f64 v[0:1], v[96:97], s[22:23], v[2:3]
	;; [unrolled: 1-line block ×5, first 2 shown]
	v_add_f64_e32 v[10:11], v[12:13], v[102:103]
	v_add_f64_e32 v[12:13], v[18:19], v[106:107]
	v_fma_f64 v[4:5], v[14:15], s[16:17], v[4:5]
	v_fma_f64 v[0:1], v[6:7], s[14:15], v[0:1]
	;; [unrolled: 1-line block ×4, first 2 shown]
	v_add_f64_e32 v[8:9], v[116:117], v[134:135]
	v_fma_f64 v[82:83], v[12:13], s[18:19], v[4:5]
	v_fma_f64 v[4:5], v[112:113], s[20:21], v[92:93]
	;; [unrolled: 1-line block ×3, first 2 shown]
	v_add_f64_e32 v[0:1], v[114:115], v[132:133]
	v_fma_f64 v[86:87], v[12:13], s[18:19], v[6:7]
	v_fma_f64 v[6:7], v[118:119], s[22:23], v[94:95]
	;; [unrolled: 1-line block ×3, first 2 shown]
	v_add_f64_e32 v[2:3], v[120:121], v[136:137]
	v_add_f64_e32 v[10:11], v[122:123], v[138:139]
	v_fma_f64 v[4:5], v[128:129], s[14:15], v[4:5]
	v_fma_f64 v[6:7], v[130:131], s[16:17], v[6:7]
	s_delay_alu instid0(VALU_DEP_2) | instskip(SKIP_1) | instid1(VALU_DEP_3)
	v_fma_f64 v[88:89], v[0:1], s[18:19], v[4:5]
	v_fma_f64 v[4:5], v[112:113], s[22:23], v[92:93]
	;; [unrolled: 1-line block ×4, first 2 shown]
	s_delay_alu instid0(VALU_DEP_3) | instskip(NEXT) | instid1(VALU_DEP_2)
	v_fma_f64 v[4:5], v[128:129], s[16:17], v[4:5]
	v_fma_f64 v[6:7], v[130:131], s[14:15], v[6:7]
	s_delay_alu instid0(VALU_DEP_2) | instskip(SKIP_2) | instid1(VALU_DEP_4)
	v_fma_f64 v[92:93], v[0:1], s[18:19], v[4:5]
	v_fma_f64 v[4:5], v[130:131], s[20:21], v[110:111]
	v_fma_f64 v[0:1], v[128:129], s[22:23], v[108:109]
	v_fma_f64 v[94:95], v[2:3], s[18:19], v[6:7]
	v_fma_f64 v[6:7], v[130:131], s[22:23], v[110:111]
	v_fma_f64 v[2:3], v[128:129], s[20:21], v[108:109]
	v_fma_f64 v[4:5], v[118:119], s[16:17], v[4:5]
	v_fma_f64 v[0:1], v[112:113], s[14:15], v[0:1]
	s_delay_alu instid0(VALU_DEP_4) | instskip(NEXT) | instid1(VALU_DEP_4)
	v_fma_f64 v[6:7], v[118:119], s[14:15], v[6:7]
	v_fma_f64 v[2:3], v[112:113], s[16:17], v[2:3]
	s_delay_alu instid0(VALU_DEP_4)
	v_fma_f64 v[98:99], v[10:11], s[18:19], v[4:5]
	v_fma_f64 v[4:5], v[162:163], s[22:23], v[126:127]
	;; [unrolled: 1-line block ×3, first 2 shown]
	v_add_f64_e32 v[0:1], v[152:153], v[168:169]
	v_fma_f64 v[102:103], v[10:11], s[18:19], v[6:7]
	v_fma_f64 v[6:7], v[164:165], s[20:21], v[142:143]
	;; [unrolled: 1-line block ×3, first 2 shown]
	v_add_f64_e32 v[2:3], v[156:157], v[172:173]
	v_add_f64_e32 v[8:9], v[148:149], v[166:167]
	;; [unrolled: 1-line block ×3, first 2 shown]
	v_add_co_u32 v148, s24, v174, 9
	v_add_co_u32 v156, null, v174, 18
	v_add_co_u32 v172, null, v174, 36
	v_fma_f64 v[4:5], v[146:147], s[14:15], v[4:5]
	v_fma_f64 v[6:7], v[150:151], s[16:17], v[6:7]
	s_delay_alu instid0(VALU_DEP_2) | instskip(SKIP_1) | instid1(VALU_DEP_3)
	v_fma_f64 v[104:105], v[0:1], s[18:19], v[4:5]
	v_fma_f64 v[4:5], v[162:163], s[20:21], v[126:127]
	;; [unrolled: 1-line block ×4, first 2 shown]
	v_and_b32_e32 v142, 0xff, v172
	s_delay_alu instid0(VALU_DEP_4) | instskip(NEXT) | instid1(VALU_DEP_3)
	v_fma_f64 v[4:5], v[146:147], s[16:17], v[4:5]
	v_fma_f64 v[6:7], v[150:151], s[14:15], v[6:7]
	s_delay_alu instid0(VALU_DEP_2) | instskip(SKIP_2) | instid1(VALU_DEP_4)
	v_fma_f64 v[108:109], v[0:1], s[18:19], v[4:5]
	v_fma_f64 v[0:1], v[146:147], s[20:21], v[124:125]
	;; [unrolled: 1-line block ×8, first 2 shown]
	s_delay_alu instid0(VALU_DEP_4) | instskip(NEXT) | instid1(VALU_DEP_4)
	v_fma_f64 v[2:3], v[162:163], s[16:17], v[2:3]
	v_fma_f64 v[6:7], v[164:165], s[14:15], v[6:7]
	v_add_co_u32 v164, null, v174, 27
	s_delay_alu instid0(VALU_DEP_1) | instskip(NEXT) | instid1(VALU_DEP_1)
	v_and_b32_e32 v141, 0xff, v164
	v_mul_lo_u16 v19, 0x89, v141
	s_delay_alu instid0(VALU_DEP_1) | instskip(NEXT) | instid1(VALU_DEP_1)
	v_lshrrev_b16 v19, 11, v19
	v_mul_lo_u16 v20, v19, 15
	s_delay_alu instid0(VALU_DEP_1) | instskip(NEXT) | instid1(VALU_DEP_1)
	v_sub_nc_u16 v20, v164, v20
	v_and_b32_e32 v20, 0xff, v20
	v_fma_f64 v[112:113], v[8:9], s[18:19], v[0:1]
	v_mul_lo_u16 v0, v144, 5
	v_fma_f64 v[114:115], v[10:11], s[18:19], v[4:5]
	s_delay_alu instid0(VALU_DEP_4) | instskip(SKIP_4) | instid1(VALU_DEP_2)
	v_lshlrev_b32_e32 v21, 5, v20
	v_fma_f64 v[116:117], v[8:9], s[18:19], v[2:3]
	v_fma_f64 v[118:119], v[10:11], s[18:19], v[6:7]
	v_and_b32_e32 v0, 0xffff, v0
	v_mov_b32_e32 v10, v174
	v_lshl_add_u32 v186, v0, 4, v145
	v_mul_u32_u24_e32 v0, 5, v148
	ds_store_b128 v186, v[64:67]
	ds_store_b128 v186, v[60:63] offset:16
	ds_store_b128 v186, v[80:83] offset:32
	;; [unrolled: 1-line block ×4, first 2 shown]
	v_lshl_add_u32 v185, v0, 4, v145
	v_mul_u32_u24_e32 v0, 5, v156
	ds_store_b128 v185, v[68:71]
	ds_store_b128 v185, v[88:91] offset:16
	ds_store_b128 v185, v[96:99] offset:32
	;; [unrolled: 1-line block ×4, first 2 shown]
	v_lshl_add_u32 v184, v0, 4, v145
	v_add_co_u32 v0, s2, v174, -5
	s_wait_alu 0xf1ff
	v_add_co_ci_u32_e64 v1, null, 0, -1, s2
	ds_store_b128 v184, v[76:79]
	ds_store_b128 v184, v[112:115] offset:16
	ds_store_b128 v184, v[104:107] offset:32
	;; [unrolled: 1-line block ×4, first 2 shown]
	v_cndmask_b32_e32 v100, v0, v174, vcc_lo
	v_cndmask_b32_e64 v101, v1, 0, vcc_lo
	global_wb scope:SCOPE_SE
	s_wait_dscnt 0x0
	s_barrier_signal -1
	s_barrier_wait -1
	global_inv scope:SCOPE_SE
	v_lshlrev_b64_e32 v[0:1], 5, v[100:101]
	ds_load_b128 v[64:67], v182 offset:720
	ds_load_b128 v[191:194], v182 offset:288
	;; [unrolled: 1-line block ×6, first 2 shown]
	v_add_co_u32 v0, vcc_lo, s10, v0
	s_wait_alu 0xfffd
	v_add_co_ci_u32_e32 v1, vcc_lo, s11, v1, vcc_lo
	ds_load_b128 v[157:160], v182 offset:2016
	s_mov_b32 s2, 0xe8584caa
	s_mov_b32 s3, 0x3febb67a
	s_clause 0x1
	global_load_b128 v[4:7], v[0:1], off
	global_load_b128 v[68:71], v[0:1], off offset:16
	s_wait_alu 0xfffe
	s_mov_b32 s12, s2
	v_cmp_lt_u16_e64 vcc_lo, 4, v144
	ds_load_b128 v[76:79], v182 offset:1584
	ds_load_b128 v[80:83], v182 offset:1008
	;; [unrolled: 1-line block ×3, first 2 shown]
	s_wait_loadcnt_dscnt 0x109
	v_mul_f64_e32 v[2:3], v[66:67], v[6:7]
	scratch_store_b128 off, v[4:7], off offset:260 ; 16-byte Folded Spill
	v_fma_f64 v[107:108], v[64:65], v[4:5], -v[2:3]
	v_mul_f64_e32 v[2:3], v[64:65], v[6:7]
	s_delay_alu instid0(VALU_DEP_1) | instskip(SKIP_3) | instid1(VALU_DEP_1)
	v_fma_f64 v[139:140], v[66:67], v[4:5], v[2:3]
	ds_load_b128 v[64:67], v182 offset:1440
	s_wait_loadcnt_dscnt 0x0
	v_mul_f64_e32 v[0:1], v[66:67], v[70:71]
	v_fma_f64 v[119:120], v[64:65], v[68:69], -v[0:1]
	v_mul_f64_e32 v[0:1], v[64:65], v[70:71]
	s_delay_alu instid0(VALU_DEP_1) | instskip(SKIP_3) | instid1(VALU_DEP_1)
	v_fma_f64 v[123:124], v[66:67], v[68:69], v[0:1]
	v_and_b32_e32 v0, 0xff, v148
	ds_load_b128 v[64:67], v182 offset:864
	v_mul_lo_u16 v0, 0xcd, v0
	v_lshrrev_b16 v143, 10, v0
	s_delay_alu instid0(VALU_DEP_1) | instskip(NEXT) | instid1(VALU_DEP_1)
	v_mul_lo_u16 v0, v143, 5
	v_sub_nc_u16 v146, v148, v0
	s_delay_alu instid0(VALU_DEP_1) | instskip(NEXT) | instid1(VALU_DEP_1)
	v_lshlrev_b16 v0, 1, v146
	v_and_b32_e32 v0, 0xfe, v0
	s_delay_alu instid0(VALU_DEP_1)
	v_lshlrev_b32_e32 v2, 4, v0
	v_add_f64_e64 v[8:9], v[139:140], -v[123:124]
	s_clause 0x1
	global_load_b128 v[72:75], v2, s[10:11]
	global_load_b128 v[2:5], v2, s[10:11] offset:16
	s_wait_loadcnt_dscnt 0x100
	v_mul_f64_e32 v[0:1], v[66:67], v[74:75]
	s_wait_loadcnt 0x0
	scratch_store_b128 off, v[2:5], off offset:244 ; 16-byte Folded Spill
	v_fma_f64 v[101:102], v[64:65], v[72:73], -v[0:1]
	v_mul_f64_e32 v[0:1], v[64:65], v[74:75]
	s_delay_alu instid0(VALU_DEP_1) | instskip(SKIP_1) | instid1(VALU_DEP_1)
	v_fma_f64 v[103:104], v[66:67], v[72:73], v[0:1]
	v_mul_f64_e32 v[0:1], v[78:79], v[4:5]
	v_fma_f64 v[109:110], v[76:77], v[2:3], -v[0:1]
	v_mul_f64_e32 v[0:1], v[76:77], v[4:5]
	s_delay_alu instid0(VALU_DEP_1) | instskip(SKIP_1) | instid1(VALU_DEP_1)
	v_fma_f64 v[111:112], v[78:79], v[2:3], v[0:1]
	v_and_b32_e32 v0, 0xff, v156
	v_mul_lo_u16 v0, 0xcd, v0
	s_delay_alu instid0(VALU_DEP_1) | instskip(NEXT) | instid1(VALU_DEP_1)
	v_lshrrev_b16 v147, 10, v0
	v_mul_lo_u16 v0, v147, 5
	s_delay_alu instid0(VALU_DEP_1) | instskip(NEXT) | instid1(VALU_DEP_1)
	v_sub_nc_u16 v149, v156, v0
	v_lshlrev_b16 v0, 1, v149
	s_delay_alu instid0(VALU_DEP_1) | instskip(NEXT) | instid1(VALU_DEP_1)
	v_and_b32_e32 v0, 0xfe, v0
	v_lshlrev_b32_e32 v2, 4, v0
	global_load_b128 v[76:79], v2, s[10:11]
	s_wait_loadcnt 0x0
	v_mul_f64_e32 v[0:1], v[82:83], v[78:79]
	s_delay_alu instid0(VALU_DEP_1) | instskip(SKIP_1) | instid1(VALU_DEP_1)
	v_fma_f64 v[105:106], v[80:81], v[76:77], -v[0:1]
	v_mul_f64_e32 v[0:1], v[80:81], v[78:79]
	v_fma_f64 v[113:114], v[82:83], v[76:77], v[0:1]
	global_load_b128 v[80:83], v2, s[10:11] offset:16
	s_wait_loadcnt 0x0
	v_mul_f64_e32 v[0:1], v[86:87], v[82:83]
	s_delay_alu instid0(VALU_DEP_1) | instskip(SKIP_1) | instid1(VALU_DEP_1)
	v_fma_f64 v[115:116], v[84:85], v[80:81], -v[0:1]
	v_mul_f64_e32 v[0:1], v[84:85], v[82:83]
	v_fma_f64 v[121:122], v[86:87], v[80:81], v[0:1]
	v_mul_lo_u16 v0, 0xcd, v141
	s_delay_alu instid0(VALU_DEP_1) | instskip(NEXT) | instid1(VALU_DEP_1)
	v_lshrrev_b16 v150, 10, v0
	v_mul_lo_u16 v0, v150, 5
	s_delay_alu instid0(VALU_DEP_1) | instskip(NEXT) | instid1(VALU_DEP_1)
	v_sub_nc_u16 v151, v164, v0
	v_lshlrev_b16 v0, 1, v151
	s_delay_alu instid0(VALU_DEP_1) | instskip(NEXT) | instid1(VALU_DEP_1)
	v_and_b32_e32 v0, 0xfe, v0
	v_lshlrev_b32_e32 v2, 4, v0
	global_load_b128 v[84:87], v2, s[10:11]
	s_wait_loadcnt 0x0
	v_mul_f64_e32 v[0:1], v[90:91], v[86:87]
	s_delay_alu instid0(VALU_DEP_1) | instskip(SKIP_1) | instid1(VALU_DEP_1)
	v_fma_f64 v[117:118], v[88:89], v[84:85], -v[0:1]
	v_mul_f64_e32 v[0:1], v[88:89], v[86:87]
	v_fma_f64 v[125:126], v[90:91], v[84:85], v[0:1]
	global_load_b128 v[88:91], v2, s[10:11] offset:16
	s_wait_loadcnt 0x0
	v_mul_f64_e32 v[0:1], v[94:95], v[90:91]
	s_delay_alu instid0(VALU_DEP_1) | instskip(SKIP_1) | instid1(VALU_DEP_1)
	v_fma_f64 v[127:128], v[92:93], v[88:89], -v[0:1]
	v_mul_f64_e32 v[0:1], v[92:93], v[90:91]
	v_fma_f64 v[131:132], v[94:95], v[88:89], v[0:1]
	v_mul_lo_u16 v0, 0xcd, v142
	s_delay_alu instid0(VALU_DEP_1) | instskip(NEXT) | instid1(VALU_DEP_1)
	v_lshrrev_b16 v152, 10, v0
	v_mul_lo_u16 v0, v152, 5
	s_delay_alu instid0(VALU_DEP_1) | instskip(NEXT) | instid1(VALU_DEP_1)
	v_sub_nc_u16 v153, v172, v0
	v_lshlrev_b16 v0, 1, v153
	s_delay_alu instid0(VALU_DEP_1) | instskip(NEXT) | instid1(VALU_DEP_1)
	v_and_b32_e32 v0, 0xfe, v0
	v_lshlrev_b32_e32 v2, 4, v0
	global_load_b128 v[92:95], v2, s[10:11]
	s_wait_loadcnt 0x0
	v_mul_f64_e32 v[0:1], v[98:99], v[94:95]
	s_delay_alu instid0(VALU_DEP_1) | instskip(SKIP_1) | instid1(VALU_DEP_1)
	v_fma_f64 v[129:130], v[96:97], v[92:93], -v[0:1]
	v_mul_f64_e32 v[0:1], v[96:97], v[94:95]
	v_fma_f64 v[133:134], v[98:99], v[92:93], v[0:1]
	global_load_b128 v[96:99], v2, s[10:11] offset:16
	v_add_f64_e32 v[2:3], v[139:140], v[123:124]
	s_wait_loadcnt 0x0
	v_mul_f64_e32 v[0:1], v[159:160], v[98:99]
	s_delay_alu instid0(VALU_DEP_1) | instskip(SKIP_1) | instid1(VALU_DEP_1)
	v_fma_f64 v[135:136], v[157:158], v[96:97], -v[0:1]
	v_mul_f64_e32 v[0:1], v[157:158], v[98:99]
	v_fma_f64 v[137:138], v[159:160], v[96:97], v[0:1]
	v_add_f64_e32 v[0:1], v[107:108], v[119:120]
	ds_load_b128 v[157:160], v182
	s_wait_dscnt 0x0
	v_add_f64_e32 v[4:5], v[159:160], v[139:140]
	v_fma_f64 v[2:3], v[2:3], -0.5, v[159:160]
	v_add_f64_e32 v[6:7], v[157:158], v[107:108]
	v_fma_f64 v[0:1], v[0:1], -0.5, v[157:158]
	s_delay_alu instid0(VALU_DEP_4) | instskip(SKIP_1) | instid1(VALU_DEP_4)
	v_add_f64_e32 v[159:160], v[4:5], v[123:124]
	v_add_f64_e64 v[4:5], v[107:108], -v[119:120]
	v_add_f64_e32 v[157:158], v[6:7], v[119:120]
	v_add_f64_e32 v[6:7], v[187:188], v[101:102]
	v_fma_f64 v[165:166], v[8:9], s[2:3], v[0:1]
	s_wait_alu 0xfffe
	v_fma_f64 v[173:174], v[8:9], s[12:13], v[0:1]
	v_add_f64_e32 v[0:1], v[101:102], v[109:110]
	v_add_f64_e64 v[8:9], v[103:104], -v[111:112]
	v_fma_f64 v[167:168], v[4:5], s[12:13], v[2:3]
	v_fma_f64 v[175:176], v[4:5], s[2:3], v[2:3]
	v_add_f64_e32 v[2:3], v[103:104], v[111:112]
	v_add_f64_e32 v[4:5], v[189:190], v[103:104]
	v_fma_f64 v[0:1], v[0:1], -0.5, v[187:188]
	v_add_f64_e32 v[187:188], v[6:7], v[109:110]
	v_add_f64_e32 v[6:7], v[191:192], v[105:106]
	v_fma_f64 v[2:3], v[2:3], -0.5, v[189:190]
	v_add_f64_e32 v[189:190], v[4:5], v[111:112]
	v_add_f64_e64 v[4:5], v[101:102], -v[109:110]
	v_fma_f64 v[101:102], v[8:9], s[2:3], v[0:1]
	v_fma_f64 v[107:108], v[8:9], s[12:13], v[0:1]
	v_add_f64_e32 v[0:1], v[105:106], v[115:116]
	v_add_f64_e64 v[8:9], v[113:114], -v[121:122]
	v_add_f64_e32 v[111:112], v[6:7], v[115:116]
	v_fma_f64 v[103:104], v[4:5], s[12:13], v[2:3]
	v_fma_f64 v[109:110], v[4:5], s[2:3], v[2:3]
	v_add_f64_e32 v[2:3], v[113:114], v[121:122]
	v_add_f64_e32 v[4:5], v[193:194], v[113:114]
	v_fma_f64 v[0:1], v[0:1], -0.5, v[191:192]
	s_delay_alu instid0(VALU_DEP_3) | instskip(NEXT) | instid1(VALU_DEP_3)
	v_fma_f64 v[2:3], v[2:3], -0.5, v[193:194]
	v_add_f64_e32 v[113:114], v[4:5], v[121:122]
	v_add_f64_e64 v[4:5], v[105:106], -v[115:116]
	ds_load_b128 v[191:194], v182 offset:432
	v_fma_f64 v[119:120], v[8:9], s[2:3], v[0:1]
	v_fma_f64 v[195:196], v[8:9], s[12:13], v[0:1]
	v_add_f64_e32 v[0:1], v[117:118], v[127:128]
	v_add_f64_e64 v[8:9], v[125:126], -v[131:132]
	s_wait_dscnt 0x0
	v_add_f64_e32 v[6:7], v[191:192], v[117:118]
	v_fma_f64 v[121:122], v[4:5], s[12:13], v[2:3]
	v_fma_f64 v[197:198], v[4:5], s[2:3], v[2:3]
	v_add_f64_e32 v[2:3], v[125:126], v[131:132]
	v_add_f64_e32 v[4:5], v[193:194], v[125:126]
	v_fma_f64 v[0:1], v[0:1], -0.5, v[191:192]
	v_add_f64_e32 v[123:124], v[6:7], v[127:128]
	s_delay_alu instid0(VALU_DEP_4) | instskip(NEXT) | instid1(VALU_DEP_4)
	v_fma_f64 v[2:3], v[2:3], -0.5, v[193:194]
	v_add_f64_e32 v[125:126], v[4:5], v[131:132]
	v_add_f64_e64 v[4:5], v[117:118], -v[127:128]
	ds_load_b128 v[191:194], v182 offset:576
	global_wb scope:SCOPE_SE
	s_wait_storecnt_dscnt 0x0
	s_barrier_signal -1
	s_barrier_wait -1
	global_inv scope:SCOPE_SE
	v_fma_f64 v[115:116], v[8:9], s[2:3], v[0:1]
	v_fma_f64 v[199:200], v[8:9], s[12:13], v[0:1]
	v_add_f64_e32 v[0:1], v[129:130], v[135:136]
	v_add_f64_e64 v[8:9], v[133:134], -v[137:138]
	v_add_f64_e32 v[6:7], v[191:192], v[129:130]
	v_fma_f64 v[117:118], v[4:5], s[12:13], v[2:3]
	v_fma_f64 v[201:202], v[4:5], s[2:3], v[2:3]
	v_add_f64_e32 v[2:3], v[133:134], v[137:138]
	v_add_f64_e32 v[4:5], v[193:194], v[133:134]
	v_fma_f64 v[0:1], v[0:1], -0.5, v[191:192]
	v_add_f64_e32 v[131:132], v[6:7], v[135:136]
	s_delay_alu instid0(VALU_DEP_4) | instskip(NEXT) | instid1(VALU_DEP_4)
	v_fma_f64 v[2:3], v[2:3], -0.5, v[193:194]
	v_add_f64_e32 v[133:134], v[4:5], v[137:138]
	v_add_f64_e64 v[4:5], v[129:130], -v[135:136]
	v_fma_f64 v[127:128], v[8:9], s[2:3], v[0:1]
	v_fma_f64 v[135:136], v[8:9], s[12:13], v[0:1]
	s_wait_alu 0xfffd
	v_cndmask_b32_e64 v0, 0, 15, vcc_lo
	v_add_co_u32 v8, s25, v10, -6
	v_cmp_gt_u16_e64 vcc_lo, 6, v144
	v_add_co_ci_u32_e64 v9, null, 0, 0, s24
	s_delay_alu instid0(VALU_DEP_4) | instskip(SKIP_2) | instid1(VALU_DEP_2)
	v_add_nc_u32_e32 v0, v100, v0
	s_wait_alu 0xfffd
	v_cndmask_b32_e32 v8, v8, v148, vcc_lo
	v_lshl_add_u32 v194, v0, 4, v145
	v_mad_u16 v0, v143, 15, v146
	ds_store_b128 v194, v[157:160]
	ds_store_b128 v194, v[165:168] offset:80
	ds_store_b128 v194, v[173:176] offset:160
	v_and_b32_e32 v0, 0xff, v0
	v_lshlrev_b32_e32 v146, 5, v10
	s_delay_alu instid0(VALU_DEP_2)
	v_lshl_add_u32 v193, v0, 4, v145
	v_mad_u16 v0, v147, 15, v149
	ds_store_b128 v193, v[187:190]
	ds_store_b128 v193, v[101:104] offset:80
	ds_store_b128 v193, v[107:110] offset:160
	v_fma_f64 v[129:130], v[4:5], s[12:13], v[2:3]
	v_fma_f64 v[137:138], v[4:5], s[2:3], v[2:3]
	v_and_b32_e32 v0, 0xff, v0
	s_delay_alu instid0(VALU_DEP_1)
	v_lshl_add_u32 v192, v0, 4, v145
	v_mad_u16 v0, v150, 15, v151
	ds_store_b128 v192, v[111:114]
	ds_store_b128 v192, v[119:122] offset:80
	ds_store_b128 v192, v[195:198] offset:160
	v_and_b32_e32 v0, 0xff, v0
	s_delay_alu instid0(VALU_DEP_1)
	v_lshl_add_u32 v0, v0, 4, v145
	scratch_store_b32 off, v0, off offset:280 ; 4-byte Folded Spill
	ds_store_b128 v0, v[123:126]
	ds_store_b128 v0, v[115:118] offset:80
	ds_store_b128 v0, v[199:202] offset:160
	v_mad_u16 v0, v152, 15, v153
	s_delay_alu instid0(VALU_DEP_1) | instskip(NEXT) | instid1(VALU_DEP_1)
	v_and_b32_e32 v0, 0xff, v0
	v_lshl_add_u32 v0, v0, 4, v145
	scratch_store_b32 off, v0, off offset:276 ; 4-byte Folded Spill
	ds_store_b128 v0, v[131:134]
	ds_store_b128 v0, v[127:130] offset:80
	ds_store_b128 v0, v[135:138] offset:160
	global_wb scope:SCOPE_SE
	s_wait_storecnt_dscnt 0x0
	s_barrier_signal -1
	s_barrier_wait -1
	global_inv scope:SCOPE_SE
	global_load_b128 v[100:103], v146, s[10:11] offset:160
	ds_load_b128 v[104:107], v182 offset:720
	ds_load_b128 v[223:226], v182 offset:576
	ds_load_b128 v[108:111], v182 offset:1440
	ds_load_b128 v[116:119], v182 offset:1584
	scratch_store_b32 off, v10, off offset:240 ; 4-byte Folded Spill
	v_add_co_ci_u32_e64 v10, null, 0, -1, s25
	ds_load_b128 v[112:115], v182 offset:864
	ds_load_b128 v[120:123], v182 offset:1008
	;; [unrolled: 1-line block ×3, first 2 shown]
	v_cndmask_b32_e32 v9, v10, v9, vcc_lo
	ds_load_b128 v[199:202], v182 offset:288
	ds_load_b128 v[211:214], v182 offset:432
	;; [unrolled: 1-line block ×3, first 2 shown]
	v_lshlrev_b64_e32 v[9:10], 5, v[8:9]
	s_delay_alu instid0(VALU_DEP_1) | instskip(SKIP_1) | instid1(VALU_DEP_2)
	v_add_co_u32 v9, vcc_lo, s10, v9
	s_wait_alu 0xfffd
	v_add_co_ci_u32_e32 v10, vcc_lo, s11, v10, vcc_lo
	v_cmp_lt_u16_e64 vcc_lo, 5, v144
	s_wait_loadcnt_dscnt 0x9
	v_mul_f64_e32 v[0:1], v[106:107], v[102:103]
	v_mul_f64_e32 v[2:3], v[104:105], v[102:103]
	s_delay_alu instid0(VALU_DEP_2) | instskip(NEXT) | instid1(VALU_DEP_2)
	v_fma_f64 v[0:1], v[104:105], v[100:101], -v[0:1]
	v_fma_f64 v[2:3], v[106:107], v[100:101], v[2:3]
	global_load_b128 v[104:107], v146, s[10:11] offset:176
	s_wait_loadcnt_dscnt 0x7
	v_mul_f64_e32 v[4:5], v[110:111], v[106:107]
	v_mul_f64_e32 v[6:7], v[108:109], v[106:107]
	s_delay_alu instid0(VALU_DEP_2) | instskip(NEXT) | instid1(VALU_DEP_2)
	v_fma_f64 v[4:5], v[108:109], v[104:105], -v[4:5]
	v_fma_f64 v[6:7], v[110:111], v[104:105], v[6:7]
	global_load_b128 v[108:111], v[9:10], off offset:160
	s_wait_loadcnt_dscnt 0x5
	v_mul_f64_e32 v[11:12], v[114:115], v[110:111]
	v_mul_f64_e32 v[13:14], v[112:113], v[110:111]
	s_delay_alu instid0(VALU_DEP_2) | instskip(NEXT) | instid1(VALU_DEP_2)
	v_fma_f64 v[11:12], v[112:113], v[108:109], -v[11:12]
	v_fma_f64 v[13:14], v[114:115], v[108:109], v[13:14]
	global_load_b128 v[112:115], v[9:10], off offset:176
	s_wait_loadcnt 0x0
	v_mul_f64_e32 v[9:10], v[118:119], v[114:115]
	v_mul_f64_e32 v[15:16], v[116:117], v[114:115]
	s_delay_alu instid0(VALU_DEP_2) | instskip(NEXT) | instid1(VALU_DEP_2)
	v_fma_f64 v[9:10], v[116:117], v[112:113], -v[9:10]
	v_fma_f64 v[15:16], v[118:119], v[112:113], v[15:16]
	global_load_b128 v[116:119], v146, s[10:11] offset:256
	s_wait_loadcnt_dscnt 0x4
	v_mul_f64_e32 v[17:18], v[122:123], v[118:119]
	s_delay_alu instid0(VALU_DEP_1) | instskip(SKIP_1) | instid1(VALU_DEP_1)
	v_fma_f64 v[17:18], v[120:121], v[116:117], -v[17:18]
	v_mul_f64_e32 v[120:121], v[120:121], v[118:119]
	v_fma_f64 v[153:154], v[122:123], v[116:117], v[120:121]
	global_load_b128 v[120:123], v146, s[10:11] offset:272
	s_wait_loadcnt_dscnt 0x3
	v_mul_f64_e32 v[128:129], v[126:127], v[122:123]
	s_delay_alu instid0(VALU_DEP_1) | instskip(SKIP_2) | instid1(VALU_DEP_1)
	v_fma_f64 v[161:162], v[124:125], v[120:121], -v[128:129]
	global_load_b128 v[128:131], v21, s[10:11] offset:160
	v_mul_f64_e32 v[124:125], v[124:125], v[122:123]
	v_fma_f64 v[169:170], v[126:127], v[120:121], v[124:125]
	ds_load_b128 v[124:127], v182 offset:1152
	s_wait_loadcnt_dscnt 0x0
	v_mul_f64_e32 v[132:133], v[126:127], v[130:131]
	s_delay_alu instid0(VALU_DEP_1) | instskip(SKIP_3) | instid1(VALU_DEP_1)
	v_fma_f64 v[177:178], v[124:125], v[128:129], -v[132:133]
	global_load_b128 v[132:135], v21, s[10:11] offset:176
	v_mul_f64_e32 v[124:125], v[124:125], v[130:131]
	v_mul_lo_u16 v21, 0x89, v142
	v_lshrrev_b16 v21, 11, v21
	s_delay_alu instid0(VALU_DEP_1) | instskip(NEXT) | instid1(VALU_DEP_1)
	v_mul_lo_u16 v21, v21, 15
	v_sub_nc_u16 v21, v172, v21
	s_delay_alu instid0(VALU_DEP_1) | instskip(NEXT) | instid1(VALU_DEP_1)
	v_and_b32_e32 v21, 0xff, v21
	v_lshlrev_b32_e32 v22, 5, v21
	v_lshl_add_u32 v255, v21, 4, v145
	v_fma_f64 v[187:188], v[126:127], v[128:129], v[124:125]
	ds_load_b128 v[124:127], v182 offset:1872
	s_wait_loadcnt_dscnt 0x0
	v_mul_f64_e32 v[136:137], v[126:127], v[134:135]
	s_delay_alu instid0(VALU_DEP_1) | instskip(SKIP_2) | instid1(VALU_DEP_1)
	v_fma_f64 v[189:190], v[124:125], v[132:133], -v[136:137]
	global_load_b128 v[136:139], v22, s[10:11] offset:160
	v_mul_f64_e32 v[124:125], v[124:125], v[134:135]
	v_fma_f64 v[215:216], v[126:127], v[132:133], v[124:125]
	ds_load_b128 v[124:127], v182 offset:1296
	s_wait_loadcnt_dscnt 0x0
	v_mul_f64_e32 v[140:141], v[126:127], v[138:139]
	s_delay_alu instid0(VALU_DEP_1) | instskip(SKIP_2) | instid1(VALU_DEP_1)
	v_fma_f64 v[227:228], v[124:125], v[136:137], -v[140:141]
	global_load_b128 v[140:143], v22, s[10:11] offset:176
	v_mul_f64_e32 v[124:125], v[124:125], v[138:139]
	v_fma_f64 v[229:230], v[126:127], v[136:137], v[124:125]
	ds_load_b128 v[124:127], v182 offset:2016
	s_wait_loadcnt_dscnt 0x0
	v_mul_f64_e32 v[149:150], v[126:127], v[142:143]
	s_delay_alu instid0(VALU_DEP_1) | instskip(SKIP_2) | instid1(VALU_DEP_2)
	v_fma_f64 v[231:232], v[124:125], v[140:141], -v[149:150]
	v_mul_f64_e32 v[124:125], v[124:125], v[142:143]
	v_add_f64_e32 v[149:150], v[0:1], v[4:5]
	v_fma_f64 v[233:234], v[126:127], v[140:141], v[124:125]
	ds_load_b128 v[124:127], v182
	global_wb scope:SCOPE_SE
	s_wait_storecnt_dscnt 0x0
	s_barrier_signal -1
	s_barrier_wait -1
	global_inv scope:SCOPE_SE
	v_fma_f64 v[151:152], v[149:150], -0.5, v[124:125]
	v_add_f64_e32 v[149:150], v[2:3], v[6:7]
	v_add_f64_e32 v[124:125], v[124:125], v[0:1]
	v_add_f64_e64 v[0:1], v[0:1], -v[4:5]
	s_delay_alu instid0(VALU_DEP_3) | instskip(SKIP_4) | instid1(VALU_DEP_4)
	v_fma_f64 v[159:160], v[149:150], -0.5, v[126:127]
	v_add_f64_e32 v[126:127], v[126:127], v[2:3]
	v_add_f64_e64 v[2:3], v[2:3], -v[6:7]
	v_add_f64_e32 v[124:125], v[124:125], v[4:5]
	v_add_f64_e32 v[4:5], v[167:168], v[13:14]
	;; [unrolled: 1-line block ×3, first 2 shown]
	s_delay_alu instid0(VALU_DEP_4)
	v_fma_f64 v[149:150], v[2:3], s[2:3], v[151:152]
	v_fma_f64 v[157:158], v[2:3], s[12:13], v[151:152]
	;; [unrolled: 1-line block ×4, first 2 shown]
	v_add_f64_e32 v[0:1], v[11:12], v[9:10]
	v_add_f64_e32 v[2:3], v[13:14], v[15:16]
	v_add_f64_e64 v[13:14], v[13:14], -v[15:16]
	v_add_f64_e32 v[6:7], v[165:166], v[11:12]
	ds_store_b128 v182, v[124:127]
	ds_store_b128 v182, v[149:152] offset:240
	ds_store_b128 v182, v[157:160] offset:480
	v_fma_f64 v[0:1], v[0:1], -0.5, v[165:166]
	v_fma_f64 v[2:3], v[2:3], -0.5, v[167:168]
	v_add_f64_e32 v[167:168], v[4:5], v[15:16]
	v_add_f64_e64 v[4:5], v[11:12], -v[9:10]
	v_add_f64_e32 v[165:166], v[6:7], v[9:10]
	v_add_f64_e64 v[9:10], v[153:154], -v[169:170]
	v_add_f64_e32 v[6:7], v[199:200], v[17:18]
	v_lshlrev_b32_e32 v12, 5, v148
	v_fma_f64 v[173:174], v[13:14], s[2:3], v[0:1]
	v_fma_f64 v[195:196], v[13:14], s[12:13], v[0:1]
	v_add_f64_e32 v[0:1], v[17:18], v[161:162]
	v_fma_f64 v[175:176], v[4:5], s[12:13], v[2:3]
	v_fma_f64 v[197:198], v[4:5], s[2:3], v[2:3]
	v_add_f64_e32 v[2:3], v[153:154], v[169:170]
	v_add_f64_e32 v[4:5], v[201:202], v[153:154]
	v_fma_f64 v[0:1], v[0:1], -0.5, v[199:200]
	v_add_f64_e32 v[199:200], v[6:7], v[161:162]
	v_add_f64_e32 v[6:7], v[211:212], v[177:178]
	v_fma_f64 v[2:3], v[2:3], -0.5, v[201:202]
	v_add_f64_e32 v[201:202], v[4:5], v[169:170]
	v_add_f64_e64 v[4:5], v[17:18], -v[161:162]
	v_fma_f64 v[203:204], v[9:10], s[2:3], v[0:1]
	v_fma_f64 v[207:208], v[9:10], s[12:13], v[0:1]
	v_add_f64_e32 v[0:1], v[177:178], v[189:190]
	v_add_f64_e64 v[9:10], v[187:188], -v[215:216]
	v_fma_f64 v[205:206], v[4:5], s[12:13], v[2:3]
	v_fma_f64 v[209:210], v[4:5], s[2:3], v[2:3]
	v_add_f64_e32 v[2:3], v[187:188], v[215:216]
	v_add_f64_e32 v[4:5], v[213:214], v[187:188]
	v_fma_f64 v[0:1], v[0:1], -0.5, v[211:212]
	v_add_f64_e32 v[211:212], v[6:7], v[189:190]
	v_add_f64_e32 v[6:7], v[223:224], v[227:228]
	v_fma_f64 v[2:3], v[2:3], -0.5, v[213:214]
	v_add_f64_e32 v[213:214], v[4:5], v[215:216]
	v_add_f64_e64 v[4:5], v[177:178], -v[189:190]
	v_fma_f64 v[215:216], v[9:10], s[2:3], v[0:1]
	v_fma_f64 v[219:220], v[9:10], s[12:13], v[0:1]
	v_add_f64_e32 v[0:1], v[227:228], v[231:232]
	v_add_f64_e64 v[9:10], v[229:230], -v[233:234]
	v_fma_f64 v[217:218], v[4:5], s[12:13], v[2:3]
	v_fma_f64 v[221:222], v[4:5], s[2:3], v[2:3]
	v_add_f64_e32 v[2:3], v[229:230], v[233:234]
	v_add_f64_e32 v[4:5], v[225:226], v[229:230]
	v_fma_f64 v[0:1], v[0:1], -0.5, v[223:224]
	v_add_f64_e32 v[223:224], v[6:7], v[231:232]
	s_delay_alu instid0(VALU_DEP_4) | instskip(NEXT) | instid1(VALU_DEP_4)
	v_fma_f64 v[2:3], v[2:3], -0.5, v[225:226]
	v_add_f64_e32 v[225:226], v[4:5], v[233:234]
	v_add_f64_e64 v[4:5], v[227:228], -v[231:232]
	v_fma_f64 v[227:228], v[9:10], s[2:3], v[0:1]
	v_fma_f64 v[231:232], v[9:10], s[12:13], v[0:1]
	s_wait_alu 0xfffd
	v_cndmask_b32_e64 v0, 0, 45, vcc_lo
	s_delay_alu instid0(VALU_DEP_1) | instskip(SKIP_2) | instid1(VALU_DEP_3)
	v_add_nc_u32_e32 v0, v8, v0
	v_fma_f64 v[229:230], v[4:5], s[12:13], v[2:3]
	v_fma_f64 v[233:234], v[4:5], s[2:3], v[2:3]
	v_lshl_add_u32 v191, v0, 4, v145
	v_and_b32_e32 v0, 0xffff, v19
	ds_store_b128 v191, v[165:168]
	ds_store_b128 v191, v[173:176] offset:240
	ds_store_b128 v191, v[195:198] offset:480
	;; [unrolled: 1-line block ×5, first 2 shown]
	v_mul_u32_u24_e32 v0, 45, v0
	s_delay_alu instid0(VALU_DEP_1) | instskip(SKIP_1) | instid1(VALU_DEP_2)
	v_add_nc_u32_e32 v0, v0, v20
	v_lshlrev_b32_e32 v20, 5, v156
	v_lshl_add_u32 v181, v0, 4, v145
	ds_store_b128 v181, v[211:214]
	ds_store_b128 v181, v[215:218] offset:240
	ds_store_b128 v181, v[219:222] offset:480
	;; [unrolled: 1-line block ×5, first 2 shown]
	global_wb scope:SCOPE_SE
	s_wait_dscnt 0x0
	s_barrier_signal -1
	s_barrier_wait -1
	global_inv scope:SCOPE_SE
	s_clause 0x1
	global_load_b128 v[124:127], v146, s[10:11] offset:640
	global_load_b128 v[144:147], v146, s[10:11] offset:656
	ds_load_b128 v[149:152], v182 offset:720
	ds_load_b128 v[243:246], v182 offset:576
	ds_load_b128 v[219:222], v182 offset:288
	ds_load_b128 v[231:234], v182 offset:432
	ds_load_b128 v[157:160], v182 offset:1584
	ds_load_b128 v[165:168], v182 offset:1728
	ds_load_b128 v[207:210], v182 offset:144
	s_wait_loadcnt_dscnt 0x106
	v_mul_f64_e32 v[0:1], v[151:152], v[126:127]
	v_mul_f64_e32 v[2:3], v[149:150], v[126:127]
	s_delay_alu instid0(VALU_DEP_2) | instskip(NEXT) | instid1(VALU_DEP_2)
	v_fma_f64 v[0:1], v[149:150], v[124:125], -v[0:1]
	v_fma_f64 v[2:3], v[151:152], v[124:125], v[2:3]
	ds_load_b128 v[149:152], v182 offset:1440
	s_wait_loadcnt_dscnt 0x0
	v_mul_f64_e32 v[4:5], v[151:152], v[146:147]
	v_mul_f64_e32 v[6:7], v[149:150], v[146:147]
	s_delay_alu instid0(VALU_DEP_2) | instskip(NEXT) | instid1(VALU_DEP_2)
	v_fma_f64 v[4:5], v[149:150], v[144:145], -v[4:5]
	v_fma_f64 v[6:7], v[151:152], v[144:145], v[6:7]
	global_load_b128 v[148:151], v12, s[10:11] offset:640
	ds_load_b128 v[152:155], v182 offset:864
	s_wait_loadcnt_dscnt 0x0
	v_mul_f64_e32 v[8:9], v[154:155], v[150:151]
	v_mul_f64_e32 v[10:11], v[152:153], v[150:151]
	s_delay_alu instid0(VALU_DEP_2) | instskip(NEXT) | instid1(VALU_DEP_2)
	v_fma_f64 v[8:9], v[152:153], v[148:149], -v[8:9]
	v_fma_f64 v[10:11], v[154:155], v[148:149], v[10:11]
	global_load_b128 v[152:155], v12, s[10:11] offset:656
	s_wait_loadcnt 0x0
	v_mul_f64_e32 v[12:13], v[159:160], v[154:155]
	v_mul_f64_e32 v[14:15], v[157:158], v[154:155]
	s_delay_alu instid0(VALU_DEP_2) | instskip(NEXT) | instid1(VALU_DEP_2)
	v_fma_f64 v[12:13], v[157:158], v[152:153], -v[12:13]
	v_fma_f64 v[14:15], v[159:160], v[152:153], v[14:15]
	global_load_b128 v[156:159], v20, s[10:11] offset:640
	ds_load_b128 v[160:163], v182 offset:1008
	s_wait_loadcnt_dscnt 0x0
	v_mul_f64_e32 v[16:17], v[162:163], v[158:159]
	v_mul_f64_e32 v[18:19], v[160:161], v[158:159]
	s_delay_alu instid0(VALU_DEP_2) | instskip(NEXT) | instid1(VALU_DEP_2)
	v_fma_f64 v[16:17], v[160:161], v[156:157], -v[16:17]
	v_fma_f64 v[18:19], v[162:163], v[156:157], v[18:19]
	global_load_b128 v[160:163], v20, s[10:11] offset:656
	v_lshlrev_b32_e32 v20, 5, v164
	s_wait_loadcnt 0x0
	v_mul_f64_e32 v[169:170], v[167:168], v[162:163]
	s_delay_alu instid0(VALU_DEP_1) | instskip(SKIP_1) | instid1(VALU_DEP_1)
	v_fma_f64 v[187:188], v[165:166], v[160:161], -v[169:170]
	v_mul_f64_e32 v[165:166], v[165:166], v[162:163]
	v_fma_f64 v[189:190], v[167:168], v[160:161], v[165:166]
	global_load_b128 v[164:167], v20, s[10:11] offset:640
	ds_load_b128 v[168:171], v182 offset:1152
	s_wait_loadcnt_dscnt 0x0
	v_mul_f64_e32 v[173:174], v[170:171], v[166:167]
	s_delay_alu instid0(VALU_DEP_1)
	v_fma_f64 v[235:236], v[168:169], v[164:165], -v[173:174]
	v_mul_f64_e32 v[168:169], v[168:169], v[166:167]
	ds_load_b128 v[173:176], v182 offset:1872
	v_fma_f64 v[237:238], v[170:171], v[164:165], v[168:169]
	global_load_b128 v[168:171], v20, s[10:11] offset:656
	v_lshlrev_b32_e32 v20, 5, v172
	s_wait_loadcnt_dscnt 0x0
	v_mul_f64_e32 v[177:178], v[175:176], v[170:171]
	s_delay_alu instid0(VALU_DEP_1) | instskip(SKIP_1) | instid1(VALU_DEP_1)
	v_fma_f64 v[239:240], v[173:174], v[168:169], -v[177:178]
	v_mul_f64_e32 v[173:174], v[173:174], v[170:171]
	v_fma_f64 v[241:242], v[175:176], v[168:169], v[173:174]
	global_load_b128 v[172:175], v20, s[10:11] offset:640
	ds_load_b128 v[176:179], v182 offset:1296
	s_wait_loadcnt_dscnt 0x0
	v_mul_f64_e32 v[195:196], v[178:179], v[174:175]
	s_delay_alu instid0(VALU_DEP_1)
	v_fma_f64 v[247:248], v[176:177], v[172:173], -v[195:196]
	v_mul_f64_e32 v[176:177], v[176:177], v[174:175]
	ds_load_b128 v[195:198], v182 offset:2016
	v_fma_f64 v[249:250], v[178:179], v[172:173], v[176:177]
	global_load_b128 v[176:179], v20, s[10:11] offset:656
	s_wait_loadcnt_dscnt 0x0
	v_mul_f64_e32 v[199:200], v[197:198], v[178:179]
	s_delay_alu instid0(VALU_DEP_1) | instskip(SKIP_2) | instid1(VALU_DEP_2)
	v_fma_f64 v[251:252], v[195:196], v[176:177], -v[199:200]
	v_mul_f64_e32 v[195:196], v[195:196], v[178:179]
	v_add_f64_e32 v[199:200], v[0:1], v[4:5]
	v_fma_f64 v[253:254], v[197:198], v[176:177], v[195:196]
	ds_load_b128 v[195:198], v182
	s_wait_dscnt 0x0
	v_fma_f64 v[201:202], v[199:200], -0.5, v[195:196]
	v_add_f64_e32 v[199:200], v[2:3], v[6:7]
	v_add_f64_e32 v[195:196], v[195:196], v[0:1]
	v_add_f64_e64 v[0:1], v[0:1], -v[4:5]
	s_delay_alu instid0(VALU_DEP_3) | instskip(SKIP_4) | instid1(VALU_DEP_4)
	v_fma_f64 v[205:206], v[199:200], -0.5, v[197:198]
	v_add_f64_e32 v[197:198], v[197:198], v[2:3]
	v_add_f64_e64 v[2:3], v[2:3], -v[6:7]
	v_add_f64_e32 v[195:196], v[195:196], v[4:5]
	v_add_f64_e32 v[4:5], v[209:210], v[10:11]
	v_add_f64_e32 v[197:198], v[197:198], v[6:7]
	s_delay_alu instid0(VALU_DEP_4)
	v_fma_f64 v[199:200], v[2:3], s[2:3], v[201:202]
	v_fma_f64 v[203:204], v[2:3], s[12:13], v[201:202]
	v_fma_f64 v[201:202], v[0:1], s[12:13], v[205:206]
	v_fma_f64 v[205:206], v[0:1], s[2:3], v[205:206]
	v_add_f64_e32 v[0:1], v[8:9], v[12:13]
	v_add_f64_e32 v[2:3], v[10:11], v[14:15]
	v_add_f64_e64 v[10:11], v[10:11], -v[14:15]
	v_add_f64_e32 v[6:7], v[207:208], v[8:9]
	s_delay_alu instid0(VALU_DEP_4) | instskip(NEXT) | instid1(VALU_DEP_4)
	v_fma_f64 v[0:1], v[0:1], -0.5, v[207:208]
	v_fma_f64 v[2:3], v[2:3], -0.5, v[209:210]
	v_add_f64_e32 v[209:210], v[4:5], v[14:15]
	v_add_f64_e64 v[4:5], v[8:9], -v[12:13]
	v_add_f64_e64 v[8:9], v[18:19], -v[189:190]
	v_add_f64_e32 v[207:208], v[6:7], v[12:13]
	v_add_f64_e32 v[6:7], v[219:220], v[16:17]
	v_fma_f64 v[211:212], v[10:11], s[2:3], v[0:1]
	v_fma_f64 v[215:216], v[10:11], s[12:13], v[0:1]
	v_add_f64_e32 v[0:1], v[16:17], v[187:188]
	v_fma_f64 v[213:214], v[4:5], s[12:13], v[2:3]
	v_fma_f64 v[217:218], v[4:5], s[2:3], v[2:3]
	v_add_f64_e32 v[2:3], v[18:19], v[189:190]
	v_add_f64_e32 v[4:5], v[221:222], v[18:19]
	v_fma_f64 v[0:1], v[0:1], -0.5, v[219:220]
	v_add_f64_e32 v[219:220], v[6:7], v[187:188]
	v_add_f64_e32 v[6:7], v[231:232], v[235:236]
	v_fma_f64 v[2:3], v[2:3], -0.5, v[221:222]
	v_add_f64_e32 v[221:222], v[4:5], v[189:190]
	v_add_f64_e64 v[4:5], v[16:17], -v[187:188]
	v_fma_f64 v[223:224], v[8:9], s[2:3], v[0:1]
	v_fma_f64 v[227:228], v[8:9], s[12:13], v[0:1]
	v_add_f64_e32 v[0:1], v[235:236], v[239:240]
	v_add_f64_e64 v[8:9], v[237:238], -v[241:242]
	v_fma_f64 v[225:226], v[4:5], s[12:13], v[2:3]
	v_fma_f64 v[229:230], v[4:5], s[2:3], v[2:3]
	v_add_f64_e32 v[2:3], v[237:238], v[241:242]
	v_add_f64_e32 v[4:5], v[233:234], v[237:238]
	v_fma_f64 v[0:1], v[0:1], -0.5, v[231:232]
	v_add_f64_e32 v[231:232], v[6:7], v[239:240]
	v_add_f64_e32 v[6:7], v[243:244], v[247:248]
	v_fma_f64 v[2:3], v[2:3], -0.5, v[233:234]
	v_add_f64_e32 v[233:234], v[4:5], v[241:242]
	v_add_f64_e64 v[4:5], v[235:236], -v[239:240]
	v_fma_f64 v[235:236], v[8:9], s[2:3], v[0:1]
	v_fma_f64 v[239:240], v[8:9], s[12:13], v[0:1]
	v_add_f64_e32 v[0:1], v[247:248], v[251:252]
	v_add_f64_e64 v[8:9], v[249:250], -v[253:254]
	v_fma_f64 v[237:238], v[4:5], s[12:13], v[2:3]
	v_fma_f64 v[241:242], v[4:5], s[2:3], v[2:3]
	v_add_f64_e32 v[2:3], v[249:250], v[253:254]
	v_add_f64_e32 v[4:5], v[245:246], v[249:250]
	v_fma_f64 v[0:1], v[0:1], -0.5, v[243:244]
	v_add_f64_e32 v[243:244], v[6:7], v[251:252]
	s_delay_alu instid0(VALU_DEP_4) | instskip(NEXT) | instid1(VALU_DEP_4)
	v_fma_f64 v[2:3], v[2:3], -0.5, v[245:246]
	v_add_f64_e32 v[245:246], v[4:5], v[253:254]
	v_add_f64_e64 v[4:5], v[247:248], -v[251:252]
	v_fma_f64 v[247:248], v[8:9], s[2:3], v[0:1]
	v_fma_f64 v[251:252], v[8:9], s[12:13], v[0:1]
	s_delay_alu instid0(VALU_DEP_3)
	v_fma_f64 v[249:250], v[4:5], s[12:13], v[2:3]
	v_fma_f64 v[253:254], v[4:5], s[2:3], v[2:3]
	ds_store_b128 v182, v[195:198]
	ds_store_b128 v182, v[207:210] offset:144
	ds_store_b128 v182, v[219:222] offset:288
	;; [unrolled: 1-line block ×14, first 2 shown]
	global_wb scope:SCOPE_SE
	s_wait_dscnt 0x0
	s_barrier_signal -1
	s_barrier_wait -1
	global_inv scope:SCOPE_SE
	global_load_b128 v[195:198], v183, s[8:9] offset:2160
	ds_load_b128 v[199:202], v182
	ds_load_b128 v[229:232], v182 offset:144
	s_add_nc_u64 s[8:9], s[8:9], 0x870
	ds_load_b128 v[205:208], v182 offset:432
	ds_load_b128 v[235:238], v182 offset:576
	;; [unrolled: 1-line block ×8, first 2 shown]
	s_wait_loadcnt_dscnt 0x9
	v_mul_f64_e32 v[0:1], v[201:202], v[197:198]
	v_mul_f64_e32 v[2:3], v[199:200], v[197:198]
	s_delay_alu instid0(VALU_DEP_2) | instskip(NEXT) | instid1(VALU_DEP_2)
	v_fma_f64 v[197:198], v[199:200], v[195:196], -v[0:1]
	v_fma_f64 v[199:200], v[201:202], v[195:196], v[2:3]
	global_load_b128 v[201:204], v183, s[8:9] offset:432
	s_wait_loadcnt_dscnt 0x7
	v_mul_f64_e32 v[0:1], v[207:208], v[203:204]
	v_mul_f64_e32 v[2:3], v[205:206], v[203:204]
	s_delay_alu instid0(VALU_DEP_2) | instskip(NEXT) | instid1(VALU_DEP_2)
	v_fma_f64 v[203:204], v[205:206], v[201:202], -v[0:1]
	v_fma_f64 v[205:206], v[207:208], v[201:202], v[2:3]
	global_load_b128 v[207:210], v183, s[8:9] offset:864
	;; [unrolled: 7-line block ×5, first 2 shown]
	s_wait_loadcnt 0x0
	v_mul_f64_e32 v[0:1], v[231:232], v[227:228]
	v_mul_f64_e32 v[2:3], v[229:230], v[227:228]
	s_delay_alu instid0(VALU_DEP_2) | instskip(NEXT) | instid1(VALU_DEP_2)
	v_fma_f64 v[227:228], v[229:230], v[225:226], -v[0:1]
	v_fma_f64 v[229:230], v[231:232], v[225:226], v[2:3]
	global_load_b128 v[231:234], v183, s[8:9] offset:576
	s_wait_loadcnt 0x0
	v_mul_f64_e32 v[0:1], v[237:238], v[233:234]
	v_mul_f64_e32 v[2:3], v[235:236], v[233:234]
	s_delay_alu instid0(VALU_DEP_2) | instskip(NEXT) | instid1(VALU_DEP_2)
	v_fma_f64 v[233:234], v[235:236], v[231:232], -v[0:1]
	v_fma_f64 v[235:236], v[237:238], v[231:232], v[2:3]
	global_load_b128 v[237:240], v183, s[8:9] offset:1008
	;; [unrolled: 7-line block ×4, first 2 shown]
	s_wait_loadcnt_dscnt 0x0
	v_mul_f64_e32 v[0:1], v[189:190], v[251:252]
	v_mul_f64_e32 v[2:3], v[187:188], v[251:252]
	s_delay_alu instid0(VALU_DEP_2) | instskip(NEXT) | instid1(VALU_DEP_2)
	v_fma_f64 v[187:188], v[187:188], v[249:250], -v[0:1]
	v_fma_f64 v[189:190], v[189:190], v[249:250], v[2:3]
	global_load_b128 v[249:252], v183, s[8:9] offset:288
	ds_load_b128 v[0:3], v182 offset:288
	s_wait_loadcnt_dscnt 0x0
	v_mul_f64_e32 v[4:5], v[2:3], v[251:252]
	v_mul_f64_e32 v[6:7], v[0:1], v[251:252]
	s_delay_alu instid0(VALU_DEP_2) | instskip(NEXT) | instid1(VALU_DEP_2)
	v_fma_f64 v[16:17], v[0:1], v[249:250], -v[4:5]
	v_fma_f64 v[18:19], v[2:3], v[249:250], v[6:7]
	global_load_b128 v[249:252], v183, s[8:9] offset:720
	ds_load_b128 v[0:3], v182 offset:720
	;; [unrolled: 8-line block ×5, first 2 shown]
	s_wait_loadcnt_dscnt 0x0
	v_mul_f64_e32 v[195:196], v[2:3], v[251:252]
	v_mul_f64_e32 v[201:202], v[0:1], v[251:252]
	s_delay_alu instid0(VALU_DEP_2) | instskip(NEXT) | instid1(VALU_DEP_2)
	v_fma_f64 v[0:1], v[0:1], v[249:250], -v[195:196]
	v_fma_f64 v[2:3], v[2:3], v[249:250], v[201:202]
	ds_store_b128 v182, v[197:200]
	ds_store_b128 v182, v[227:230] offset:144
	ds_store_b128 v182, v[209:212] offset:864
	;; [unrolled: 1-line block ×14, first 2 shown]
	global_wb scope:SCOPE_SE
	s_wait_dscnt 0x0
	s_barrier_signal -1
	s_barrier_wait -1
	global_inv scope:SCOPE_SE
	ds_load_b128 v[0:3], v182 offset:432
	ds_load_b128 v[4:7], v182
	ds_load_b128 v[8:11], v182 offset:864
	s_wait_dscnt 0x1
	v_add_f64_e32 v[12:13], v[4:5], v[0:1]
	s_wait_dscnt 0x0
	v_add_f64_e64 v[207:208], v[0:1], -v[8:9]
	v_add_f64_e64 v[209:210], v[8:9], -v[0:1]
	v_add_f64_e64 v[215:216], v[2:3], -v[10:11]
	v_add_f64_e64 v[217:218], v[10:11], -v[2:3]
	v_add_f64_e32 v[16:17], v[12:13], v[8:9]
	v_add_f64_e32 v[12:13], v[6:7], v[2:3]
	s_delay_alu instid0(VALU_DEP_1)
	v_add_f64_e32 v[18:19], v[12:13], v[10:11]
	ds_load_b128 v[12:15], v182 offset:1296
	s_wait_dscnt 0x0
	v_add_f64_e32 v[203:204], v[8:9], v[12:13]
	v_add_f64_e64 v[205:206], v[10:11], -v[14:15]
	v_add_f64_e32 v[211:212], v[10:11], v[14:15]
	v_add_f64_e64 v[213:214], v[8:9], -v[12:13]
	ds_load_b128 v[8:11], v182 offset:1728
	s_wait_dscnt 0x0
	v_add_f64_e64 v[219:220], v[2:3], -v[10:11]
	v_add_f64_e32 v[221:222], v[0:1], v[8:9]
	v_add_f64_e64 v[223:224], v[0:1], -v[8:9]
	v_add_f64_e32 v[225:226], v[2:3], v[10:11]
	v_add_f64_e32 v[0:1], v[16:17], v[12:13]
	;; [unrolled: 1-line block ×3, first 2 shown]
	v_add_f64_e64 v[227:228], v[8:9], -v[12:13]
	v_add_f64_e64 v[229:230], v[12:13], -v[8:9]
	;; [unrolled: 1-line block ×4, first 2 shown]
	v_add_f64_e32 v[241:242], v[0:1], v[8:9]
	v_add_f64_e32 v[243:244], v[2:3], v[10:11]
	ds_load_b128 v[8:11], v182 offset:144
	ds_load_b128 v[12:15], v182 offset:576
	;; [unrolled: 1-line block ×3, first 2 shown]
	s_wait_dscnt 0x1
	v_add_f64_e32 v[187:188], v[8:9], v[12:13]
	s_wait_dscnt 0x0
	v_add_f64_e64 v[239:240], v[12:13], -v[16:17]
	v_add_f64_e64 v[64:65], v[16:17], -v[12:13]
	;; [unrolled: 1-line block ×4, first 2 shown]
	v_add_f64_e32 v[195:196], v[187:188], v[16:17]
	v_add_f64_e32 v[187:188], v[10:11], v[14:15]
	s_delay_alu instid0(VALU_DEP_1)
	v_add_f64_e32 v[197:198], v[187:188], v[18:19]
	ds_load_b128 v[187:190], v182 offset:1440
	s_wait_dscnt 0x0
	v_add_f64_e32 v[20:21], v[195:196], v[187:188]
	v_add_f64_e32 v[235:236], v[16:17], v[187:188]
	v_add_f64_e64 v[237:238], v[18:19], -v[189:190]
	v_add_f64_e32 v[60:61], v[18:19], v[189:190]
	v_add_f64_e64 v[245:246], v[16:17], -v[187:188]
	ds_load_b128 v[16:19], v182 offset:1872
	v_add_f64_e32 v[22:23], v[197:198], v[189:190]
	s_wait_dscnt 0x0
	v_add_f64_e64 v[251:252], v[14:15], -v[18:19]
	v_add_f64_e32 v[253:254], v[12:13], v[16:17]
	v_add_f64_e64 v[24:25], v[12:13], -v[16:17]
	v_add_f64_e32 v[40:41], v[14:15], v[18:19]
	v_add_f64_e64 v[56:57], v[16:17], -v[187:188]
	v_add_f64_e64 v[36:37], v[187:188], -v[16:17]
	;; [unrolled: 1-line block ×4, first 2 shown]
	v_add_f64_e32 v[20:21], v[20:21], v[16:17]
	v_add_f64_e32 v[22:23], v[22:23], v[18:19]
	ds_load_b128 v[16:19], v182 offset:288
	ds_load_b128 v[187:190], v182 offset:720
	;; [unrolled: 1-line block ×3, first 2 shown]
	s_wait_dscnt 0x1
	v_add_f64_e32 v[199:200], v[16:17], v[187:188]
	v_add_f64_e32 v[34:35], v[18:19], v[189:190]
	s_wait_dscnt 0x0
	v_add_f64_e64 v[48:49], v[187:188], -v[195:196]
	v_add_f64_e64 v[42:43], v[195:196], -v[187:188]
	;; [unrolled: 1-line block ×4, first 2 shown]
	v_add_f64_e32 v[0:1], v[199:200], v[195:196]
	ds_load_b128 v[199:202], v182 offset:1584
	v_add_f64_e32 v[34:35], v[34:35], v[197:198]
	s_wait_dscnt 0x0
	v_add_f64_e32 v[32:33], v[195:196], v[199:200]
	v_add_f64_e64 v[38:39], v[197:198], -v[201:202]
	v_add_f64_e32 v[30:31], v[197:198], v[201:202]
	v_add_f64_e64 v[46:47], v[195:196], -v[199:200]
	ds_load_b128 v[195:198], v182 offset:2016
	global_wb scope:SCOPE_SE
	s_wait_dscnt 0x0
	s_barrier_signal -1
	s_barrier_wait -1
	global_inv scope:SCOPE_SE
	v_add_f64_e32 v[0:1], v[0:1], v[199:200]
	v_add_f64_e32 v[34:35], v[34:35], v[201:202]
	;; [unrolled: 1-line block ×3, first 2 shown]
	v_add_f64_e64 v[14:15], v[187:188], -v[195:196]
	v_add_f64_e64 v[28:29], v[195:196], -v[199:200]
	v_add_f64_e64 v[62:63], v[199:200], -v[195:196]
	v_add_f64_e64 v[12:13], v[189:190], -v[197:198]
	v_add_f64_e32 v[58:59], v[189:190], v[197:198]
	v_fma_f64 v[199:200], v[211:212], -0.5, v[6:7]
	v_add_f64_e64 v[26:27], v[197:198], -v[201:202]
	v_add_f64_e64 v[66:67], v[201:202], -v[197:198]
	v_add_f64_e32 v[201:202], v[217:218], v[233:234]
	v_add_f64_e32 v[187:188], v[0:1], v[195:196]
	v_fma_f64 v[0:1], v[221:222], -0.5, v[4:5]
	v_fma_f64 v[195:196], v[225:226], -0.5, v[6:7]
	v_add_f64_e32 v[189:190], v[34:35], v[197:198]
	v_fma_f64 v[34:35], v[203:204], -0.5, v[4:5]
	v_add_f64_e32 v[197:198], v[209:210], v[229:230]
	v_fma_f64 v[4:5], v[205:206], s[20:21], v[0:1]
	v_fma_f64 v[6:7], v[213:214], s[22:23], v[195:196]
	;; [unrolled: 1-line block ×4, first 2 shown]
	s_delay_alu instid0(VALU_DEP_4) | instskip(NEXT) | instid1(VALU_DEP_4)
	v_fma_f64 v[4:5], v[219:220], s[16:17], v[4:5]
	v_fma_f64 v[6:7], v[223:224], s[14:15], v[6:7]
	s_delay_alu instid0(VALU_DEP_4) | instskip(NEXT) | instid1(VALU_DEP_4)
	v_fma_f64 v[0:1], v[219:220], s[14:15], v[0:1]
	v_fma_f64 v[203:204], v[223:224], s[16:17], v[195:196]
	;; [unrolled: 3-line block ×4, first 2 shown]
	v_fma_f64 v[0:1], v[219:220], s[22:23], v[34:35]
	v_fma_f64 v[201:202], v[223:224], s[20:21], v[199:200]
	;; [unrolled: 1-line block ×4, first 2 shown]
	v_add_f64_e32 v[203:204], v[207:208], v[227:228]
	v_add_f64_e32 v[207:208], v[215:216], v[231:232]
	v_fma_f64 v[0:1], v[205:206], s[16:17], v[0:1]
	v_fma_f64 v[201:202], v[213:214], s[14:15], v[201:202]
	;; [unrolled: 1-line block ×4, first 2 shown]
	s_delay_alu instid0(VALU_DEP_4) | instskip(NEXT) | instid1(VALU_DEP_4)
	v_fma_f64 v[199:200], v[203:204], s[18:19], v[0:1]
	v_fma_f64 v[201:202], v[207:208], s[18:19], v[201:202]
	s_delay_alu instid0(VALU_DEP_4) | instskip(NEXT) | instid1(VALU_DEP_4)
	v_fma_f64 v[203:204], v[203:204], s[18:19], v[34:35]
	v_fma_f64 v[205:206], v[207:208], s[18:19], v[205:206]
	ds_store_b128 v186, v[241:244]
	ds_store_b128 v186, v[199:202] offset:16
	ds_store_b128 v186, v[4:7] offset:32
	;; [unrolled: 1-line block ×4, first 2 shown]
	v_fma_f64 v[4:5], v[253:254], -0.5, v[8:9]
	v_fma_f64 v[6:7], v[40:41], -0.5, v[10:11]
	;; [unrolled: 1-line block ×3, first 2 shown]
	v_add_f64_e32 v[10:11], v[64:65], v[36:37]
	v_add_f64_e32 v[36:37], v[249:250], v[2:3]
	v_fma_f64 v[8:9], v[235:236], -0.5, v[8:9]
	v_add_f64_e32 v[40:41], v[247:248], v[52:53]
	v_fma_f64 v[0:1], v[237:238], s[20:21], v[4:5]
	v_fma_f64 v[2:3], v[245:246], s[22:23], v[6:7]
	;; [unrolled: 1-line block ×4, first 2 shown]
	s_delay_alu instid0(VALU_DEP_4) | instskip(NEXT) | instid1(VALU_DEP_4)
	v_fma_f64 v[0:1], v[251:252], s[16:17], v[0:1]
	v_fma_f64 v[2:3], v[24:25], s[14:15], v[2:3]
	s_delay_alu instid0(VALU_DEP_4) | instskip(NEXT) | instid1(VALU_DEP_4)
	v_fma_f64 v[4:5], v[251:252], s[14:15], v[4:5]
	v_fma_f64 v[6:7], v[24:25], s[16:17], v[6:7]
	;; [unrolled: 3-line block ×4, first 2 shown]
	v_fma_f64 v[10:11], v[251:252], s[22:23], v[8:9]
	v_fma_f64 v[36:37], v[24:25], s[20:21], v[34:35]
	;; [unrolled: 1-line block ×4, first 2 shown]
	v_add_f64_e32 v[34:35], v[239:240], v[56:57]
	v_fma_f64 v[10:11], v[237:238], s[16:17], v[10:11]
	v_fma_f64 v[36:37], v[245:246], s[14:15], v[36:37]
	;; [unrolled: 1-line block ×4, first 2 shown]
	s_delay_alu instid0(VALU_DEP_4) | instskip(NEXT) | instid1(VALU_DEP_4)
	v_fma_f64 v[8:9], v[34:35], s[18:19], v[10:11]
	v_fma_f64 v[10:11], v[40:41], s[18:19], v[36:37]
	s_delay_alu instid0(VALU_DEP_4) | instskip(NEXT) | instid1(VALU_DEP_4)
	v_fma_f64 v[195:196], v[34:35], s[18:19], v[52:53]
	v_fma_f64 v[197:198], v[40:41], s[18:19], v[24:25]
	ds_store_b128 v185, v[20:23]
	ds_store_b128 v185, v[8:11] offset:16
	ds_store_b128 v185, v[0:3] offset:32
	;; [unrolled: 1-line block ×4, first 2 shown]
	v_fma_f64 v[4:5], v[54:55], -0.5, v[16:17]
	v_fma_f64 v[6:7], v[58:59], -0.5, v[18:19]
	;; [unrolled: 1-line block ×4, first 2 shown]
	v_add_f64_e32 v[16:17], v[42:43], v[62:63]
	v_add_f64_e32 v[18:19], v[50:51], v[66:67]
	v_fma_f64 v[0:1], v[38:39], s[20:21], v[4:5]
	v_fma_f64 v[4:5], v[38:39], s[22:23], v[4:5]
	v_fma_f64 v[2:3], v[46:47], s[22:23], v[6:7]
	v_fma_f64 v[6:7], v[46:47], s[20:21], v[6:7]
	s_delay_alu instid0(VALU_DEP_4) | instskip(NEXT) | instid1(VALU_DEP_4)
	v_fma_f64 v[0:1], v[12:13], s[16:17], v[0:1]
	v_fma_f64 v[4:5], v[12:13], s[14:15], v[4:5]
	s_delay_alu instid0(VALU_DEP_4) | instskip(NEXT) | instid1(VALU_DEP_4)
	v_fma_f64 v[2:3], v[14:15], s[14:15], v[2:3]
	v_fma_f64 v[6:7], v[14:15], s[16:17], v[6:7]
	;; [unrolled: 3-line block ×3, first 2 shown]
	v_fma_f64 v[16:17], v[12:13], s[22:23], v[8:9]
	v_fma_f64 v[8:9], v[12:13], s[20:21], v[8:9]
	;; [unrolled: 1-line block ×6, first 2 shown]
	v_add_f64_e32 v[14:15], v[48:49], v[28:29]
	v_add_f64_e32 v[18:19], v[44:45], v[26:27]
	v_fma_f64 v[16:17], v[38:39], s[16:17], v[16:17]
	v_fma_f64 v[20:21], v[38:39], s[14:15], v[8:9]
	;; [unrolled: 1-line block ×4, first 2 shown]
	s_delay_alu instid0(VALU_DEP_4) | instskip(NEXT) | instid1(VALU_DEP_3)
	v_fma_f64 v[8:9], v[14:15], s[18:19], v[16:17]
	v_fma_f64 v[10:11], v[18:19], s[18:19], v[12:13]
	;; [unrolled: 1-line block ×3, first 2 shown]
	s_delay_alu instid0(VALU_DEP_4)
	v_fma_f64 v[14:15], v[18:19], s[18:19], v[22:23]
	ds_store_b128 v184, v[187:190]
	ds_store_b128 v184, v[8:11] offset:16
	ds_store_b128 v184, v[0:3] offset:32
	;; [unrolled: 1-line block ×4, first 2 shown]
	global_wb scope:SCOPE_SE
	s_wait_dscnt 0x0
	s_barrier_signal -1
	s_barrier_wait -1
	global_inv scope:SCOPE_SE
	s_clause 0x1
	scratch_load_b128 v[6:9], off, off offset:260 th:TH_LOAD_LU
	scratch_load_b128 v[14:17], off, off offset:244 th:TH_LOAD_LU
	ds_load_b128 v[0:3], v182 offset:720
	s_wait_loadcnt_dscnt 0x100
	v_mul_f64_e32 v[4:5], v[8:9], v[2:3]
	s_delay_alu instid0(VALU_DEP_1) | instskip(SKIP_1) | instid1(VALU_DEP_1)
	v_fma_f64 v[4:5], v[6:7], v[0:1], v[4:5]
	v_mul_f64_e32 v[0:1], v[8:9], v[0:1]
	v_fma_f64 v[6:7], v[6:7], v[2:3], -v[0:1]
	ds_load_b128 v[0:3], v182 offset:1440
	s_wait_dscnt 0x0
	v_mul_f64_e32 v[8:9], v[70:71], v[2:3]
	s_delay_alu instid0(VALU_DEP_1) | instskip(SKIP_1) | instid1(VALU_DEP_1)
	v_fma_f64 v[8:9], v[68:69], v[0:1], v[8:9]
	v_mul_f64_e32 v[0:1], v[70:71], v[0:1]
	v_fma_f64 v[10:11], v[68:69], v[2:3], -v[0:1]
	ds_load_b128 v[0:3], v182 offset:864
	s_wait_dscnt 0x0
	v_mul_f64_e32 v[12:13], v[74:75], v[2:3]
	s_delay_alu instid0(VALU_DEP_1) | instskip(SKIP_1) | instid1(VALU_DEP_1)
	v_fma_f64 v[20:21], v[72:73], v[0:1], v[12:13]
	v_mul_f64_e32 v[0:1], v[74:75], v[0:1]
	v_fma_f64 v[22:23], v[72:73], v[2:3], -v[0:1]
	ds_load_b128 v[0:3], v182 offset:1584
	s_wait_loadcnt_dscnt 0x0
	v_mul_f64_e32 v[12:13], v[16:17], v[2:3]
	s_delay_alu instid0(VALU_DEP_1) | instskip(SKIP_1) | instid1(VALU_DEP_1)
	v_fma_f64 v[24:25], v[14:15], v[0:1], v[12:13]
	v_mul_f64_e32 v[0:1], v[16:17], v[0:1]
	v_fma_f64 v[26:27], v[14:15], v[2:3], -v[0:1]
	ds_load_b128 v[0:3], v182 offset:1008
	v_add_f64_e32 v[14:15], v[6:7], v[10:11]
	s_wait_dscnt 0x0
	v_mul_f64_e32 v[12:13], v[78:79], v[2:3]
	s_delay_alu instid0(VALU_DEP_1) | instskip(SKIP_1) | instid1(VALU_DEP_1)
	v_fma_f64 v[28:29], v[76:77], v[0:1], v[12:13]
	v_mul_f64_e32 v[0:1], v[78:79], v[0:1]
	v_fma_f64 v[30:31], v[76:77], v[2:3], -v[0:1]
	ds_load_b128 v[0:3], v182 offset:1728
	s_wait_dscnt 0x0
	v_mul_f64_e32 v[12:13], v[82:83], v[2:3]
	s_delay_alu instid0(VALU_DEP_1) | instskip(SKIP_1) | instid1(VALU_DEP_1)
	v_fma_f64 v[32:33], v[80:81], v[0:1], v[12:13]
	v_mul_f64_e32 v[0:1], v[82:83], v[0:1]
	v_fma_f64 v[34:35], v[80:81], v[2:3], -v[0:1]
	ds_load_b128 v[0:3], v182 offset:1152
	;; [unrolled: 7-line block ×5, first 2 shown]
	s_wait_dscnt 0x0
	v_mul_f64_e32 v[12:13], v[98:99], v[2:3]
	s_delay_alu instid0(VALU_DEP_1) | instskip(SKIP_2) | instid1(VALU_DEP_2)
	v_fma_f64 v[48:49], v[96:97], v[0:1], v[12:13]
	v_mul_f64_e32 v[0:1], v[98:99], v[0:1]
	v_add_f64_e32 v[12:13], v[4:5], v[8:9]
	v_fma_f64 v[50:51], v[96:97], v[2:3], -v[0:1]
	ds_load_b128 v[0:3], v182
	s_wait_dscnt 0x0
	v_fma_f64 v[14:15], v[14:15], -0.5, v[2:3]
	v_add_f64_e32 v[2:3], v[2:3], v[6:7]
	v_fma_f64 v[12:13], v[12:13], -0.5, v[0:1]
	v_add_f64_e32 v[0:1], v[0:1], v[4:5]
	v_add_f64_e64 v[6:7], v[6:7], -v[10:11]
	s_delay_alu instid0(VALU_DEP_4) | instskip(SKIP_1) | instid1(VALU_DEP_4)
	v_add_f64_e32 v[2:3], v[2:3], v[10:11]
	v_add_f64_e64 v[10:11], v[4:5], -v[8:9]
	v_add_f64_e32 v[0:1], v[0:1], v[8:9]
	s_delay_alu instid0(VALU_DEP_4) | instskip(SKIP_1) | instid1(VALU_DEP_4)
	v_fma_f64 v[4:5], v[6:7], s[12:13], v[12:13]
	v_fma_f64 v[8:9], v[6:7], s[2:3], v[12:13]
	;; [unrolled: 1-line block ×4, first 2 shown]
	ds_load_b128 v[12:15], v182 offset:576
	ds_load_b128 v[16:19], v182 offset:144
	;; [unrolled: 1-line block ×4, first 2 shown]
	global_wb scope:SCOPE_SE
	s_wait_dscnt 0x0
	s_barrier_signal -1
	s_barrier_wait -1
	global_inv scope:SCOPE_SE
	ds_store_b128 v194, v[0:3]
	ds_store_b128 v194, v[4:7] offset:80
	ds_store_b128 v194, v[8:11] offset:160
	v_add_f64_e32 v[0:1], v[20:21], v[24:25]
	v_add_f64_e32 v[4:5], v[16:17], v[20:21]
	v_add_f64_e64 v[8:9], v[22:23], -v[26:27]
	s_delay_alu instid0(VALU_DEP_3) | instskip(SKIP_2) | instid1(VALU_DEP_2)
	v_fma_f64 v[6:7], v[0:1], -0.5, v[16:17]
	v_add_f64_e32 v[0:1], v[22:23], v[26:27]
	v_add_f64_e64 v[16:17], v[20:21], -v[24:25]
	v_fma_f64 v[10:11], v[0:1], -0.5, v[18:19]
	v_add_f64_e32 v[0:1], v[18:19], v[22:23]
	s_delay_alu instid0(VALU_DEP_1)
	v_add_f64_e32 v[2:3], v[0:1], v[26:27]
	v_add_f64_e32 v[0:1], v[4:5], v[24:25]
	v_fma_f64 v[4:5], v[8:9], s[12:13], v[6:7]
	v_fma_f64 v[8:9], v[8:9], s[2:3], v[6:7]
	;; [unrolled: 1-line block ×4, first 2 shown]
	ds_store_b128 v193, v[0:3]
	ds_store_b128 v193, v[4:7] offset:80
	ds_store_b128 v193, v[8:11] offset:160
	v_add_f64_e32 v[0:1], v[28:29], v[32:33]
	v_add_f64_e32 v[4:5], v[60:61], v[28:29]
	v_add_f64_e64 v[8:9], v[30:31], -v[34:35]
	v_add_f64_e64 v[16:17], v[28:29], -v[32:33]
	s_delay_alu instid0(VALU_DEP_4) | instskip(SKIP_1) | instid1(VALU_DEP_1)
	v_fma_f64 v[6:7], v[0:1], -0.5, v[60:61]
	v_add_f64_e32 v[0:1], v[30:31], v[34:35]
	v_fma_f64 v[10:11], v[0:1], -0.5, v[62:63]
	v_add_f64_e32 v[0:1], v[62:63], v[30:31]
	s_delay_alu instid0(VALU_DEP_1)
	v_add_f64_e32 v[2:3], v[0:1], v[34:35]
	v_add_f64_e32 v[0:1], v[4:5], v[32:33]
	v_fma_f64 v[4:5], v[8:9], s[12:13], v[6:7]
	v_fma_f64 v[8:9], v[8:9], s[2:3], v[6:7]
	;; [unrolled: 1-line block ×4, first 2 shown]
	ds_store_b128 v192, v[0:3]
	ds_store_b128 v192, v[4:7] offset:80
	ds_store_b128 v192, v[8:11] offset:160
	v_add_f64_e32 v[0:1], v[36:37], v[40:41]
	v_add_f64_e32 v[4:5], v[64:65], v[36:37]
	v_add_f64_e64 v[8:9], v[38:39], -v[42:43]
	v_add_f64_e64 v[16:17], v[36:37], -v[40:41]
	s_delay_alu instid0(VALU_DEP_4) | instskip(SKIP_1) | instid1(VALU_DEP_1)
	v_fma_f64 v[6:7], v[0:1], -0.5, v[64:65]
	v_add_f64_e32 v[0:1], v[38:39], v[42:43]
	v_fma_f64 v[10:11], v[0:1], -0.5, v[66:67]
	v_add_f64_e32 v[0:1], v[66:67], v[38:39]
	s_delay_alu instid0(VALU_DEP_1)
	v_add_f64_e32 v[2:3], v[0:1], v[42:43]
	v_add_f64_e32 v[0:1], v[4:5], v[40:41]
	v_fma_f64 v[4:5], v[8:9], s[12:13], v[6:7]
	v_fma_f64 v[8:9], v[8:9], s[2:3], v[6:7]
	;; [unrolled: 1-line block ×4, first 2 shown]
	scratch_load_b32 v16, off, off offset:280 th:TH_LOAD_LU ; 4-byte Folded Reload
	s_wait_loadcnt 0x0
	ds_store_b128 v16, v[0:3]
	ds_store_b128 v16, v[4:7] offset:80
	ds_store_b128 v16, v[8:11] offset:160
	v_add_f64_e32 v[0:1], v[44:45], v[48:49]
	v_add_f64_e32 v[4:5], v[12:13], v[44:45]
	v_add_f64_e64 v[8:9], v[46:47], -v[50:51]
	s_delay_alu instid0(VALU_DEP_3) | instskip(SKIP_2) | instid1(VALU_DEP_2)
	v_fma_f64 v[6:7], v[0:1], -0.5, v[12:13]
	v_add_f64_e32 v[0:1], v[46:47], v[50:51]
	v_add_f64_e64 v[12:13], v[44:45], -v[48:49]
	v_fma_f64 v[10:11], v[0:1], -0.5, v[14:15]
	v_add_f64_e32 v[0:1], v[14:15], v[46:47]
	s_delay_alu instid0(VALU_DEP_1)
	v_add_f64_e32 v[2:3], v[0:1], v[50:51]
	v_add_f64_e32 v[0:1], v[4:5], v[48:49]
	v_fma_f64 v[4:5], v[8:9], s[12:13], v[6:7]
	v_fma_f64 v[8:9], v[8:9], s[2:3], v[6:7]
	;; [unrolled: 1-line block ×4, first 2 shown]
	scratch_load_b32 v12, off, off offset:276 th:TH_LOAD_LU ; 4-byte Folded Reload
	s_wait_loadcnt 0x0
	ds_store_b128 v12, v[0:3]
	ds_store_b128 v12, v[4:7] offset:80
	ds_store_b128 v12, v[8:11] offset:160
	global_wb scope:SCOPE_SE
	s_wait_dscnt 0x0
	s_barrier_signal -1
	s_barrier_wait -1
	global_inv scope:SCOPE_SE
	ds_load_b128 v[0:3], v182 offset:720
	s_wait_dscnt 0x0
	v_mul_f64_e32 v[4:5], v[102:103], v[2:3]
	s_delay_alu instid0(VALU_DEP_1) | instskip(SKIP_1) | instid1(VALU_DEP_1)
	v_fma_f64 v[4:5], v[100:101], v[0:1], v[4:5]
	v_mul_f64_e32 v[0:1], v[102:103], v[0:1]
	v_fma_f64 v[6:7], v[100:101], v[2:3], -v[0:1]
	ds_load_b128 v[0:3], v182 offset:1440
	s_wait_dscnt 0x0
	v_mul_f64_e32 v[8:9], v[106:107], v[2:3]
	s_delay_alu instid0(VALU_DEP_1) | instskip(SKIP_1) | instid1(VALU_DEP_1)
	v_fma_f64 v[8:9], v[104:105], v[0:1], v[8:9]
	v_mul_f64_e32 v[0:1], v[106:107], v[0:1]
	v_fma_f64 v[10:11], v[104:105], v[2:3], -v[0:1]
	ds_load_b128 v[0:3], v182 offset:864
	s_wait_dscnt 0x0
	v_mul_f64_e32 v[12:13], v[110:111], v[2:3]
	v_add_f64_e32 v[14:15], v[6:7], v[10:11]
	s_delay_alu instid0(VALU_DEP_2) | instskip(SKIP_1) | instid1(VALU_DEP_1)
	v_fma_f64 v[16:17], v[108:109], v[0:1], v[12:13]
	v_mul_f64_e32 v[0:1], v[110:111], v[0:1]
	v_fma_f64 v[18:19], v[108:109], v[2:3], -v[0:1]
	ds_load_b128 v[0:3], v182 offset:1584
	s_wait_dscnt 0x0
	v_mul_f64_e32 v[12:13], v[114:115], v[2:3]
	s_delay_alu instid0(VALU_DEP_1) | instskip(SKIP_1) | instid1(VALU_DEP_2)
	v_fma_f64 v[20:21], v[112:113], v[0:1], v[12:13]
	v_mul_f64_e32 v[0:1], v[114:115], v[0:1]
	v_add_f64_e32 v[48:49], v[16:17], v[20:21]
	s_delay_alu instid0(VALU_DEP_2) | instskip(SKIP_4) | instid1(VALU_DEP_2)
	v_fma_f64 v[22:23], v[112:113], v[2:3], -v[0:1]
	ds_load_b128 v[0:3], v182 offset:1008
	s_wait_dscnt 0x0
	v_mul_f64_e32 v[12:13], v[118:119], v[2:3]
	v_add_f64_e32 v[50:51], v[18:19], v[22:23]
	v_fma_f64 v[24:25], v[116:117], v[0:1], v[12:13]
	v_mul_f64_e32 v[0:1], v[118:119], v[0:1]
	s_delay_alu instid0(VALU_DEP_1) | instskip(SKIP_3) | instid1(VALU_DEP_1)
	v_fma_f64 v[26:27], v[116:117], v[2:3], -v[0:1]
	ds_load_b128 v[0:3], v182 offset:1728
	s_wait_dscnt 0x0
	v_mul_f64_e32 v[12:13], v[122:123], v[2:3]
	v_fma_f64 v[28:29], v[120:121], v[0:1], v[12:13]
	v_mul_f64_e32 v[0:1], v[122:123], v[0:1]
	s_delay_alu instid0(VALU_DEP_1) | instskip(SKIP_3) | instid1(VALU_DEP_1)
	v_fma_f64 v[30:31], v[120:121], v[2:3], -v[0:1]
	ds_load_b128 v[0:3], v182 offset:1152
	s_wait_dscnt 0x0
	v_mul_f64_e32 v[12:13], v[130:131], v[2:3]
	;; [unrolled: 7-line block ×5, first 2 shown]
	v_fma_f64 v[44:45], v[140:141], v[0:1], v[12:13]
	v_mul_f64_e32 v[0:1], v[142:143], v[0:1]
	v_add_f64_e32 v[12:13], v[4:5], v[8:9]
	s_delay_alu instid0(VALU_DEP_2)
	v_fma_f64 v[46:47], v[140:141], v[2:3], -v[0:1]
	ds_load_b128 v[0:3], v182
	s_wait_dscnt 0x0
	v_fma_f64 v[14:15], v[14:15], -0.5, v[2:3]
	v_add_f64_e32 v[2:3], v[2:3], v[6:7]
	v_fma_f64 v[12:13], v[12:13], -0.5, v[0:1]
	v_add_f64_e32 v[0:1], v[0:1], v[4:5]
	v_add_f64_e64 v[6:7], v[6:7], -v[10:11]
	s_delay_alu instid0(VALU_DEP_4) | instskip(SKIP_1) | instid1(VALU_DEP_4)
	v_add_f64_e32 v[2:3], v[2:3], v[10:11]
	v_add_f64_e64 v[10:11], v[4:5], -v[8:9]
	v_add_f64_e32 v[0:1], v[0:1], v[8:9]
	s_delay_alu instid0(VALU_DEP_4) | instskip(SKIP_1) | instid1(VALU_DEP_4)
	v_fma_f64 v[4:5], v[6:7], s[12:13], v[12:13]
	v_fma_f64 v[8:9], v[6:7], s[2:3], v[12:13]
	;; [unrolled: 1-line block ×4, first 2 shown]
	ds_load_b128 v[12:15], v182 offset:144
	ds_load_b128 v[64:67], v182 offset:576
	;; [unrolled: 1-line block ×4, first 2 shown]
	global_wb scope:SCOPE_SE
	s_wait_dscnt 0x0
	s_barrier_signal -1
	s_barrier_wait -1
	global_inv scope:SCOPE_SE
	v_fma_f64 v[48:49], v[48:49], -0.5, v[12:13]
	v_add_f64_e32 v[12:13], v[12:13], v[16:17]
	v_fma_f64 v[50:51], v[50:51], -0.5, v[14:15]
	v_add_f64_e32 v[14:15], v[14:15], v[18:19]
	v_add_f64_e64 v[18:19], v[18:19], -v[22:23]
	s_delay_alu instid0(VALU_DEP_4) | instskip(SKIP_1) | instid1(VALU_DEP_4)
	v_add_f64_e32 v[12:13], v[12:13], v[20:21]
	v_add_f64_e64 v[20:21], v[16:17], -v[20:21]
	v_add_f64_e32 v[14:15], v[14:15], v[22:23]
	s_delay_alu instid0(VALU_DEP_4)
	v_fma_f64 v[16:17], v[18:19], s[12:13], v[48:49]
	v_fma_f64 v[60:61], v[18:19], s[2:3], v[48:49]
	v_add_f64_e64 v[22:23], v[34:35], -v[38:39]
	v_fma_f64 v[18:19], v[20:21], s[2:3], v[50:51]
	v_fma_f64 v[62:63], v[20:21], s[12:13], v[50:51]
	ds_store_b128 v182, v[0:3]
	ds_store_b128 v182, v[4:7] offset:240
	ds_store_b128 v182, v[8:11] offset:480
	ds_store_b128 v191, v[12:15]
	ds_store_b128 v191, v[16:19] offset:240
	ds_store_b128 v191, v[60:63] offset:480
	v_add_f64_e32 v[0:1], v[24:25], v[28:29]
	v_add_f64_e32 v[4:5], v[68:69], v[24:25]
	v_add_f64_e64 v[8:9], v[26:27], -v[30:31]
	v_add_f64_e64 v[12:13], v[24:25], -v[28:29]
	v_add_f64_e32 v[16:17], v[72:73], v[32:33]
	v_add_f64_e64 v[24:25], v[32:33], -v[36:37]
	v_fma_f64 v[6:7], v[0:1], -0.5, v[68:69]
	v_add_f64_e32 v[0:1], v[26:27], v[30:31]
	s_delay_alu instid0(VALU_DEP_1) | instskip(SKIP_1) | instid1(VALU_DEP_1)
	v_fma_f64 v[10:11], v[0:1], -0.5, v[70:71]
	v_add_f64_e32 v[0:1], v[70:71], v[26:27]
	v_add_f64_e32 v[2:3], v[0:1], v[30:31]
	;; [unrolled: 1-line block ×3, first 2 shown]
	v_fma_f64 v[4:5], v[8:9], s[12:13], v[6:7]
	v_fma_f64 v[8:9], v[8:9], s[2:3], v[6:7]
	;; [unrolled: 1-line block ×4, first 2 shown]
	v_add_f64_e32 v[12:13], v[32:33], v[36:37]
	s_delay_alu instid0(VALU_DEP_1) | instskip(SKIP_1) | instid1(VALU_DEP_2)
	v_fma_f64 v[18:19], v[12:13], -0.5, v[72:73]
	v_add_f64_e32 v[12:13], v[34:35], v[38:39]
	v_fma_f64 v[60:61], v[22:23], s[2:3], v[18:19]
	s_delay_alu instid0(VALU_DEP_2) | instskip(SKIP_1) | instid1(VALU_DEP_2)
	v_fma_f64 v[20:21], v[12:13], -0.5, v[74:75]
	v_add_f64_e32 v[12:13], v[74:75], v[34:35]
	v_fma_f64 v[62:63], v[24:25], s[12:13], v[20:21]
	s_delay_alu instid0(VALU_DEP_2)
	v_add_f64_e32 v[14:15], v[12:13], v[38:39]
	v_add_f64_e32 v[12:13], v[16:17], v[36:37]
	v_fma_f64 v[16:17], v[22:23], s[12:13], v[18:19]
	v_fma_f64 v[18:19], v[24:25], s[2:3], v[20:21]
	ds_store_b128 v182, v[0:3] offset:768
	ds_store_b128 v182, v[4:7] offset:1008
	;; [unrolled: 1-line block ×3, first 2 shown]
	ds_store_b128 v181, v[12:15]
	ds_store_b128 v181, v[16:19] offset:240
	ds_store_b128 v181, v[60:63] offset:480
	v_add_f64_e32 v[0:1], v[40:41], v[44:45]
	v_add_f64_e32 v[4:5], v[64:65], v[40:41]
	v_add_f64_e64 v[8:9], v[42:43], -v[46:47]
	v_add_f64_e64 v[12:13], v[40:41], -v[44:45]
	s_delay_alu instid0(VALU_DEP_4) | instskip(SKIP_1) | instid1(VALU_DEP_1)
	v_fma_f64 v[6:7], v[0:1], -0.5, v[64:65]
	v_add_f64_e32 v[0:1], v[42:43], v[46:47]
	v_fma_f64 v[10:11], v[0:1], -0.5, v[66:67]
	v_add_f64_e32 v[0:1], v[66:67], v[42:43]
	s_delay_alu instid0(VALU_DEP_1)
	v_add_f64_e32 v[2:3], v[0:1], v[46:47]
	v_add_f64_e32 v[0:1], v[4:5], v[44:45]
	v_fma_f64 v[4:5], v[8:9], s[12:13], v[6:7]
	v_fma_f64 v[8:9], v[8:9], s[2:3], v[6:7]
	;; [unrolled: 1-line block ×4, first 2 shown]
	ds_store_b128 v255, v[0:3] offset:1440
	ds_store_b128 v255, v[4:7] offset:1680
	ds_store_b128 v255, v[8:11] offset:1920
	global_wb scope:SCOPE_SE
	s_wait_dscnt 0x0
	s_barrier_signal -1
	s_barrier_wait -1
	global_inv scope:SCOPE_SE
	ds_load_b128 v[0:3], v182 offset:720
	ds_load_b128 v[88:91], v182 offset:576
	;; [unrolled: 1-line block ×4, first 2 shown]
	s_wait_dscnt 0x3
	v_mul_f64_e32 v[4:5], v[126:127], v[2:3]
	s_delay_alu instid0(VALU_DEP_1) | instskip(SKIP_1) | instid1(VALU_DEP_1)
	v_fma_f64 v[4:5], v[124:125], v[0:1], v[4:5]
	v_mul_f64_e32 v[0:1], v[126:127], v[0:1]
	v_fma_f64 v[6:7], v[124:125], v[2:3], -v[0:1]
	ds_load_b128 v[0:3], v182 offset:1440
	s_wait_dscnt 0x0
	v_mul_f64_e32 v[8:9], v[146:147], v[2:3]
	s_delay_alu instid0(VALU_DEP_1) | instskip(SKIP_1) | instid1(VALU_DEP_1)
	v_fma_f64 v[8:9], v[144:145], v[0:1], v[8:9]
	v_mul_f64_e32 v[0:1], v[146:147], v[0:1]
	v_fma_f64 v[10:11], v[144:145], v[2:3], -v[0:1]
	ds_load_b128 v[0:3], v182 offset:864
	s_wait_dscnt 0x0
	v_mul_f64_e32 v[12:13], v[150:151], v[2:3]
	v_add_f64_e32 v[14:15], v[6:7], v[10:11]
	s_delay_alu instid0(VALU_DEP_2) | instskip(SKIP_1) | instid1(VALU_DEP_1)
	v_fma_f64 v[16:17], v[148:149], v[0:1], v[12:13]
	v_mul_f64_e32 v[0:1], v[150:151], v[0:1]
	v_fma_f64 v[18:19], v[148:149], v[2:3], -v[0:1]
	ds_load_b128 v[0:3], v182 offset:1584
	s_wait_dscnt 0x0
	v_mul_f64_e32 v[12:13], v[154:155], v[2:3]
	s_delay_alu instid0(VALU_DEP_1) | instskip(SKIP_1) | instid1(VALU_DEP_2)
	v_fma_f64 v[20:21], v[152:153], v[0:1], v[12:13]
	v_mul_f64_e32 v[0:1], v[154:155], v[0:1]
	v_add_f64_e32 v[48:49], v[16:17], v[20:21]
	s_delay_alu instid0(VALU_DEP_2) | instskip(SKIP_4) | instid1(VALU_DEP_2)
	v_fma_f64 v[22:23], v[152:153], v[2:3], -v[0:1]
	ds_load_b128 v[0:3], v182 offset:1008
	s_wait_dscnt 0x0
	v_mul_f64_e32 v[12:13], v[158:159], v[2:3]
	v_add_f64_e32 v[50:51], v[18:19], v[22:23]
	v_fma_f64 v[24:25], v[156:157], v[0:1], v[12:13]
	v_mul_f64_e32 v[0:1], v[158:159], v[0:1]
	s_delay_alu instid0(VALU_DEP_1) | instskip(SKIP_3) | instid1(VALU_DEP_1)
	v_fma_f64 v[26:27], v[156:157], v[2:3], -v[0:1]
	ds_load_b128 v[0:3], v182 offset:1728
	s_wait_dscnt 0x0
	v_mul_f64_e32 v[12:13], v[162:163], v[2:3]
	v_fma_f64 v[28:29], v[160:161], v[0:1], v[12:13]
	v_mul_f64_e32 v[0:1], v[162:163], v[0:1]
	s_delay_alu instid0(VALU_DEP_1) | instskip(SKIP_3) | instid1(VALU_DEP_1)
	v_fma_f64 v[30:31], v[160:161], v[2:3], -v[0:1]
	ds_load_b128 v[0:3], v182 offset:1152
	s_wait_dscnt 0x0
	v_mul_f64_e32 v[12:13], v[166:167], v[2:3]
	;; [unrolled: 7-line block ×5, first 2 shown]
	v_fma_f64 v[44:45], v[176:177], v[0:1], v[12:13]
	v_mul_f64_e32 v[0:1], v[178:179], v[0:1]
	v_add_f64_e32 v[12:13], v[4:5], v[8:9]
	s_delay_alu instid0(VALU_DEP_2)
	v_fma_f64 v[46:47], v[176:177], v[2:3], -v[0:1]
	ds_load_b128 v[0:3], v182
	s_wait_dscnt 0x0
	v_fma_f64 v[14:15], v[14:15], -0.5, v[2:3]
	v_add_f64_e32 v[2:3], v[2:3], v[6:7]
	v_fma_f64 v[12:13], v[12:13], -0.5, v[0:1]
	v_add_f64_e32 v[0:1], v[0:1], v[4:5]
	v_add_f64_e64 v[6:7], v[6:7], -v[10:11]
	s_delay_alu instid0(VALU_DEP_4) | instskip(SKIP_1) | instid1(VALU_DEP_4)
	v_add_f64_e32 v[2:3], v[2:3], v[10:11]
	v_add_f64_e64 v[10:11], v[4:5], -v[8:9]
	v_add_f64_e32 v[0:1], v[0:1], v[8:9]
	s_delay_alu instid0(VALU_DEP_4) | instskip(SKIP_1) | instid1(VALU_DEP_4)
	v_fma_f64 v[4:5], v[6:7], s[12:13], v[12:13]
	v_fma_f64 v[8:9], v[6:7], s[2:3], v[12:13]
	;; [unrolled: 1-line block ×4, first 2 shown]
	ds_load_b128 v[12:15], v182 offset:144
	s_wait_dscnt 0x0
	v_fma_f64 v[48:49], v[48:49], -0.5, v[12:13]
	v_add_f64_e32 v[12:13], v[12:13], v[16:17]
	v_fma_f64 v[50:51], v[50:51], -0.5, v[14:15]
	v_add_f64_e32 v[14:15], v[14:15], v[18:19]
	v_add_f64_e64 v[18:19], v[18:19], -v[22:23]
	s_delay_alu instid0(VALU_DEP_4) | instskip(SKIP_1) | instid1(VALU_DEP_4)
	v_add_f64_e32 v[12:13], v[12:13], v[20:21]
	v_add_f64_e64 v[20:21], v[16:17], -v[20:21]
	v_add_f64_e32 v[14:15], v[14:15], v[22:23]
	s_delay_alu instid0(VALU_DEP_4)
	v_fma_f64 v[16:17], v[18:19], s[12:13], v[48:49]
	v_fma_f64 v[60:61], v[18:19], s[2:3], v[48:49]
	v_add_f64_e32 v[22:23], v[26:27], v[30:31]
	v_add_f64_e32 v[48:49], v[66:67], v[26:27]
	v_add_f64_e64 v[26:27], v[26:27], -v[30:31]
	v_fma_f64 v[18:19], v[20:21], s[2:3], v[50:51]
	v_fma_f64 v[62:63], v[20:21], s[12:13], v[50:51]
	v_add_f64_e32 v[20:21], v[24:25], v[28:29]
	v_add_f64_e32 v[50:51], v[64:65], v[24:25]
	v_fma_f64 v[22:23], v[22:23], -0.5, v[66:67]
	v_add_f64_e64 v[24:25], v[24:25], -v[28:29]
	v_add_f64_e32 v[66:67], v[48:49], v[30:31]
	v_fma_f64 v[20:21], v[20:21], -0.5, v[64:65]
	v_add_f64_e32 v[64:65], v[50:51], v[28:29]
	v_add_f64_e64 v[28:29], v[34:35], -v[38:39]
	v_fma_f64 v[70:71], v[24:25], s[2:3], v[22:23]
	v_fma_f64 v[74:75], v[24:25], s[12:13], v[22:23]
	v_add_f64_e32 v[22:23], v[34:35], v[38:39]
	v_add_f64_e32 v[24:25], v[78:79], v[34:35]
	v_fma_f64 v[68:69], v[26:27], s[12:13], v[20:21]
	v_fma_f64 v[72:73], v[26:27], s[2:3], v[20:21]
	v_add_f64_e32 v[20:21], v[32:33], v[36:37]
	v_add_f64_e32 v[26:27], v[76:77], v[32:33]
	v_fma_f64 v[22:23], v[22:23], -0.5, v[78:79]
	v_add_f64_e32 v[78:79], v[24:25], v[38:39]
	v_add_f64_e64 v[24:25], v[32:33], -v[36:37]
	v_fma_f64 v[20:21], v[20:21], -0.5, v[76:77]
	v_add_f64_e32 v[76:77], v[26:27], v[36:37]
	v_add_f64_e32 v[26:27], v[88:89], v[40:41]
	s_delay_alu instid0(VALU_DEP_4)
	v_fma_f64 v[82:83], v[24:25], s[2:3], v[22:23]
	v_fma_f64 v[86:87], v[24:25], s[12:13], v[22:23]
	v_add_f64_e32 v[22:23], v[42:43], v[46:47]
	v_add_f64_e32 v[24:25], v[90:91], v[42:43]
	v_fma_f64 v[80:81], v[28:29], s[12:13], v[20:21]
	v_fma_f64 v[84:85], v[28:29], s[2:3], v[20:21]
	v_add_f64_e32 v[20:21], v[40:41], v[44:45]
	v_add_f64_e64 v[28:29], v[42:43], -v[46:47]
	v_fma_f64 v[22:23], v[22:23], -0.5, v[90:91]
	v_add_f64_e32 v[90:91], v[24:25], v[46:47]
	v_add_f64_e64 v[24:25], v[40:41], -v[44:45]
	v_fma_f64 v[20:21], v[20:21], -0.5, v[88:89]
	v_add_f64_e32 v[88:89], v[26:27], v[44:45]
	s_delay_alu instid0(VALU_DEP_3) | instskip(SKIP_1) | instid1(VALU_DEP_4)
	v_fma_f64 v[94:95], v[24:25], s[2:3], v[22:23]
	v_fma_f64 v[98:99], v[24:25], s[12:13], v[22:23]
	;; [unrolled: 1-line block ×4, first 2 shown]
	ds_store_b128 v182, v[0:3]
	ds_store_b128 v182, v[12:15] offset:144
	ds_store_b128 v182, v[64:67] offset:288
	;; [unrolled: 1-line block ×14, first 2 shown]
	global_wb scope:SCOPE_SE
	s_wait_dscnt 0x0
	s_barrier_signal -1
	s_barrier_wait -1
	global_inv scope:SCOPE_SE
	s_clause 0x4
	scratch_load_b128 v[6:9], off, off offset:224 th:TH_LOAD_LU
	scratch_load_b128 v[10:13], off, off th:TH_LOAD_LU
	scratch_load_b128 v[14:17], off, off offset:16 th:TH_LOAD_LU
	scratch_load_b128 v[18:21], off, off offset:32 th:TH_LOAD_LU
	scratch_load_b128 v[22:25], off, off offset:48 th:TH_LOAD_LU
	ds_load_b128 v[0:3], v182
	s_clause 0x9
	scratch_load_b128 v[26:29], off, off offset:64 th:TH_LOAD_LU
	scratch_load_b128 v[30:33], off, off offset:80 th:TH_LOAD_LU
	;; [unrolled: 1-line block ×10, first 2 shown]
	s_mul_u64 s[2:3], s[4:5], 0x1b0
	s_wait_loadcnt_dscnt 0xe00
	v_mul_f64_e32 v[4:5], v[8:9], v[2:3]
	s_delay_alu instid0(VALU_DEP_1) | instskip(SKIP_1) | instid1(VALU_DEP_1)
	v_fma_f64 v[4:5], v[6:7], v[0:1], v[4:5]
	v_mul_f64_e32 v[0:1], v[8:9], v[0:1]
	v_fma_f64 v[6:7], v[6:7], v[2:3], -v[0:1]
	ds_load_b128 v[0:3], v182 offset:432
	s_wait_loadcnt_dscnt 0xd00
	v_mul_f64_e32 v[8:9], v[12:13], v[2:3]
	s_delay_alu instid0(VALU_DEP_1) | instskip(SKIP_1) | instid1(VALU_DEP_1)
	v_fma_f64 v[8:9], v[10:11], v[0:1], v[8:9]
	v_mul_f64_e32 v[0:1], v[12:13], v[0:1]
	v_fma_f64 v[10:11], v[10:11], v[2:3], -v[0:1]
	ds_load_b128 v[0:3], v182 offset:864
	;; [unrolled: 7-line block ×14, first 2 shown]
	s_wait_loadcnt_dscnt 0x0
	v_mul_f64_e32 v[60:61], v[64:65], v[2:3]
	s_delay_alu instid0(VALU_DEP_1) | instskip(SKIP_4) | instid1(VALU_DEP_1)
	v_fma_f64 v[60:61], v[62:63], v[0:1], v[60:61]
	v_mul_f64_e32 v[0:1], v[64:65], v[0:1]
	scratch_load_b32 v64, off, off offset:240 th:TH_LOAD_LU ; 4-byte Folded Reload
	v_fma_f64 v[62:63], v[62:63], v[2:3], -v[0:1]
	v_mad_co_u64_u32 v[0:1], null, s6, v180, 0
	v_mad_co_u64_u32 v[1:2], null, s7, v180, v[1:2]
	s_delay_alu instid0(VALU_DEP_1) | instskip(SKIP_2) | instid1(VALU_DEP_1)
	v_lshlrev_b64_e32 v[0:1], 4, v[0:1]
	s_wait_loadcnt 0x0
	v_mad_co_u64_u32 v[2:3], null, s4, v64, 0
	v_mad_co_u64_u32 v[64:65], null, s5, v64, v[3:4]
	s_mulk_i32 s5, 0xf9d0
	s_wait_alu 0xfffe
	s_sub_co_i32 s5, s5, s4
	s_delay_alu instid0(VALU_DEP_1) | instskip(SKIP_3) | instid1(VALU_DEP_3)
	v_mov_b32_e32 v3, v64
	v_add_co_u32 v64, vcc_lo, s0, v0
	s_wait_alu 0xfffd
	v_add_co_ci_u32_e32 v65, vcc_lo, s1, v1, vcc_lo
	v_lshlrev_b64_e32 v[0:1], 4, v[2:3]
	s_mov_b32 s0, 0xc901e574
	s_mov_b32 s1, 0x3f7e573a
	s_wait_alu 0xfffe
	v_mul_f64_e32 v[2:3], s[0:1], v[6:7]
	v_mul_f64_e32 v[6:7], s[0:1], v[38:39]
	v_add_co_u32 v64, vcc_lo, v64, v0
	s_wait_alu 0xfffd
	v_add_co_ci_u32_e32 v65, vcc_lo, v65, v1, vcc_lo
	v_mul_f64_e32 v[0:1], s[0:1], v[4:5]
	s_delay_alu instid0(VALU_DEP_3) | instskip(SKIP_1) | instid1(VALU_DEP_3)
	v_add_co_u32 v4, vcc_lo, v64, s2
	s_wait_alu 0xfffd
	v_add_co_ci_u32_e32 v5, vcc_lo, s3, v65, vcc_lo
	global_store_b128 v[64:65], v[0:3], off
	v_mul_f64_e32 v[0:1], s[0:1], v[8:9]
	v_mul_f64_e32 v[2:3], s[0:1], v[10:11]
	;; [unrolled: 1-line block ×3, first 2 shown]
	global_store_b128 v[4:5], v[0:3], off
	v_mul_f64_e32 v[0:1], s[0:1], v[12:13]
	v_mul_f64_e32 v[2:3], s[0:1], v[14:15]
	v_add_co_u32 v4, vcc_lo, v4, s2
	s_wait_alu 0xfffd
	v_add_co_ci_u32_e32 v5, vcc_lo, s3, v5, vcc_lo
	v_mul_f64_e32 v[12:13], s[0:1], v[48:49]
	v_mul_f64_e32 v[14:15], s[0:1], v[50:51]
	global_store_b128 v[4:5], v[0:3], off
	v_mul_f64_e32 v[0:1], s[0:1], v[16:17]
	v_mul_f64_e32 v[2:3], s[0:1], v[18:19]
	v_add_co_u32 v4, vcc_lo, v4, s2
	s_wait_alu 0xfffd
	v_add_co_ci_u32_e32 v5, vcc_lo, s3, v5, vcc_lo
	v_mul_f64_e32 v[16:17], s[0:1], v[52:53]
	v_mul_f64_e32 v[18:19], s[0:1], v[54:55]
	;; [unrolled: 8-line block ×3, first 2 shown]
	global_store_b128 v[4:5], v[0:3], off
	v_mul_f64_e32 v[0:1], s[0:1], v[24:25]
	v_mul_f64_e32 v[2:3], s[0:1], v[26:27]
	v_mad_co_u64_u32 v[4:5], null, 0xfffff9d0, s4, v[4:5]
	v_mul_f64_e32 v[24:25], s[0:1], v[60:61]
	v_mul_f64_e32 v[26:27], s[0:1], v[62:63]
	s_delay_alu instid0(VALU_DEP_3)
	v_add_nc_u32_e32 v5, s5, v5
	global_store_b128 v[4:5], v[0:3], off
	v_mul_f64_e32 v[0:1], s[0:1], v[28:29]
	v_mul_f64_e32 v[2:3], s[0:1], v[30:31]
	v_add_co_u32 v4, vcc_lo, v4, s2
	s_wait_alu 0xfffd
	v_add_co_ci_u32_e32 v5, vcc_lo, s3, v5, vcc_lo
	s_delay_alu instid0(VALU_DEP_2) | instskip(SKIP_1) | instid1(VALU_DEP_2)
	v_add_co_u32 v8, vcc_lo, v4, s2
	s_wait_alu 0xfffd
	v_add_co_ci_u32_e32 v9, vcc_lo, s3, v5, vcc_lo
	s_delay_alu instid0(VALU_DEP_2) | instskip(SKIP_1) | instid1(VALU_DEP_2)
	;; [unrolled: 4-line block ×3, first 2 shown]
	v_add_co_u32 v30, vcc_lo, v28, s2
	s_wait_alu 0xfffd
	v_add_co_ci_u32_e32 v31, vcc_lo, s3, v29, vcc_lo
	global_store_b128 v[4:5], v[0:3], off
	v_mul_f64_e32 v[0:1], s[0:1], v[32:33]
	v_mul_f64_e32 v[2:3], s[0:1], v[34:35]
	;; [unrolled: 1-line block ×3, first 2 shown]
	v_mad_co_u64_u32 v[32:33], null, 0xfffff9d0, s4, v[30:31]
	s_delay_alu instid0(VALU_DEP_1) | instskip(NEXT) | instid1(VALU_DEP_2)
	v_add_nc_u32_e32 v33, s5, v33
	v_add_co_u32 v34, vcc_lo, v32, s2
	s_wait_alu 0xfffd
	s_delay_alu instid0(VALU_DEP_2)
	v_add_co_ci_u32_e32 v35, vcc_lo, s3, v33, vcc_lo
	global_store_b128 v[8:9], v[0:3], off
	v_mul_f64_e32 v[0:1], s[0:1], v[40:41]
	v_mul_f64_e32 v[2:3], s[0:1], v[42:43]
	;; [unrolled: 1-line block ×3, first 2 shown]
	global_store_b128 v[28:29], v[4:7], off
	v_add_co_u32 v4, vcc_lo, v34, s2
	s_wait_alu 0xfffd
	v_add_co_ci_u32_e32 v5, vcc_lo, s3, v35, vcc_lo
	s_delay_alu instid0(VALU_DEP_2) | instskip(SKIP_1) | instid1(VALU_DEP_2)
	v_add_co_u32 v6, vcc_lo, v4, s2
	s_wait_alu 0xfffd
	v_add_co_ci_u32_e32 v7, vcc_lo, s3, v5, vcc_lo
	s_delay_alu instid0(VALU_DEP_2) | instskip(SKIP_1) | instid1(VALU_DEP_2)
	v_add_co_u32 v28, vcc_lo, v6, s2
	s_wait_alu 0xfffd
	v_add_co_ci_u32_e32 v29, vcc_lo, s3, v7, vcc_lo
	global_store_b128 v[30:31], v[0:3], off
	global_store_b128 v[32:33], v[8:11], off
	global_store_b128 v[34:35], v[12:15], off
	global_store_b128 v[4:5], v[16:19], off
	global_store_b128 v[6:7], v[20:23], off
	global_store_b128 v[28:29], v[24:27], off
.LBB0_2:
	s_nop 0
	s_sendmsg sendmsg(MSG_DEALLOC_VGPRS)
	s_endpgm
	.section	.rodata,"a",@progbits
	.p2align	6, 0x0
	.amdhsa_kernel bluestein_single_fwd_len135_dim1_dp_op_CI_CI
		.amdhsa_group_segment_fixed_size 30240
		.amdhsa_private_segment_fixed_size 288
		.amdhsa_kernarg_size 104
		.amdhsa_user_sgpr_count 2
		.amdhsa_user_sgpr_dispatch_ptr 0
		.amdhsa_user_sgpr_queue_ptr 0
		.amdhsa_user_sgpr_kernarg_segment_ptr 1
		.amdhsa_user_sgpr_dispatch_id 0
		.amdhsa_user_sgpr_private_segment_size 0
		.amdhsa_wavefront_size32 1
		.amdhsa_uses_dynamic_stack 0
		.amdhsa_enable_private_segment 1
		.amdhsa_system_sgpr_workgroup_id_x 1
		.amdhsa_system_sgpr_workgroup_id_y 0
		.amdhsa_system_sgpr_workgroup_id_z 0
		.amdhsa_system_sgpr_workgroup_info 0
		.amdhsa_system_vgpr_workitem_id 0
		.amdhsa_next_free_vgpr 256
		.amdhsa_next_free_sgpr 26
		.amdhsa_reserve_vcc 1
		.amdhsa_float_round_mode_32 0
		.amdhsa_float_round_mode_16_64 0
		.amdhsa_float_denorm_mode_32 3
		.amdhsa_float_denorm_mode_16_64 3
		.amdhsa_fp16_overflow 0
		.amdhsa_workgroup_processor_mode 1
		.amdhsa_memory_ordered 1
		.amdhsa_forward_progress 0
		.amdhsa_round_robin_scheduling 0
		.amdhsa_exception_fp_ieee_invalid_op 0
		.amdhsa_exception_fp_denorm_src 0
		.amdhsa_exception_fp_ieee_div_zero 0
		.amdhsa_exception_fp_ieee_overflow 0
		.amdhsa_exception_fp_ieee_underflow 0
		.amdhsa_exception_fp_ieee_inexact 0
		.amdhsa_exception_int_div_zero 0
	.end_amdhsa_kernel
	.text
.Lfunc_end0:
	.size	bluestein_single_fwd_len135_dim1_dp_op_CI_CI, .Lfunc_end0-bluestein_single_fwd_len135_dim1_dp_op_CI_CI
                                        ; -- End function
	.section	.AMDGPU.csdata,"",@progbits
; Kernel info:
; codeLenInByte = 15360
; NumSgprs: 28
; NumVgprs: 256
; ScratchSize: 288
; MemoryBound: 0
; FloatMode: 240
; IeeeMode: 1
; LDSByteSize: 30240 bytes/workgroup (compile time only)
; SGPRBlocks: 3
; VGPRBlocks: 31
; NumSGPRsForWavesPerEU: 28
; NumVGPRsForWavesPerEU: 256
; Occupancy: 4
; WaveLimiterHint : 1
; COMPUTE_PGM_RSRC2:SCRATCH_EN: 1
; COMPUTE_PGM_RSRC2:USER_SGPR: 2
; COMPUTE_PGM_RSRC2:TRAP_HANDLER: 0
; COMPUTE_PGM_RSRC2:TGID_X_EN: 1
; COMPUTE_PGM_RSRC2:TGID_Y_EN: 0
; COMPUTE_PGM_RSRC2:TGID_Z_EN: 0
; COMPUTE_PGM_RSRC2:TIDIG_COMP_CNT: 0
	.text
	.p2alignl 7, 3214868480
	.fill 96, 4, 3214868480
	.type	__hip_cuid_7eb7bd12d243fb93,@object ; @__hip_cuid_7eb7bd12d243fb93
	.section	.bss,"aw",@nobits
	.globl	__hip_cuid_7eb7bd12d243fb93
__hip_cuid_7eb7bd12d243fb93:
	.byte	0                               ; 0x0
	.size	__hip_cuid_7eb7bd12d243fb93, 1

	.ident	"AMD clang version 19.0.0git (https://github.com/RadeonOpenCompute/llvm-project roc-6.4.0 25133 c7fe45cf4b819c5991fe208aaa96edf142730f1d)"
	.section	".note.GNU-stack","",@progbits
	.addrsig
	.addrsig_sym __hip_cuid_7eb7bd12d243fb93
	.amdgpu_metadata
---
amdhsa.kernels:
  - .args:
      - .actual_access:  read_only
        .address_space:  global
        .offset:         0
        .size:           8
        .value_kind:     global_buffer
      - .actual_access:  read_only
        .address_space:  global
        .offset:         8
        .size:           8
        .value_kind:     global_buffer
      - .actual_access:  read_only
        .address_space:  global
        .offset:         16
        .size:           8
        .value_kind:     global_buffer
      - .actual_access:  read_only
        .address_space:  global
        .offset:         24
        .size:           8
        .value_kind:     global_buffer
      - .actual_access:  read_only
        .address_space:  global
        .offset:         32
        .size:           8
        .value_kind:     global_buffer
      - .offset:         40
        .size:           8
        .value_kind:     by_value
      - .address_space:  global
        .offset:         48
        .size:           8
        .value_kind:     global_buffer
      - .address_space:  global
        .offset:         56
        .size:           8
        .value_kind:     global_buffer
      - .address_space:  global
        .offset:         64
        .size:           8
        .value_kind:     global_buffer
      - .address_space:  global
        .offset:         72
        .size:           8
        .value_kind:     global_buffer
      - .offset:         80
        .size:           4
        .value_kind:     by_value
      - .address_space:  global
        .offset:         88
        .size:           8
        .value_kind:     global_buffer
      - .address_space:  global
        .offset:         96
        .size:           8
        .value_kind:     global_buffer
    .group_segment_fixed_size: 30240
    .kernarg_segment_align: 8
    .kernarg_segment_size: 104
    .language:       OpenCL C
    .language_version:
      - 2
      - 0
    .max_flat_workgroup_size: 126
    .name:           bluestein_single_fwd_len135_dim1_dp_op_CI_CI
    .private_segment_fixed_size: 288
    .sgpr_count:     28
    .sgpr_spill_count: 0
    .symbol:         bluestein_single_fwd_len135_dim1_dp_op_CI_CI.kd
    .uniform_work_group_size: 1
    .uses_dynamic_stack: false
    .vgpr_count:     256
    .vgpr_spill_count: 71
    .wavefront_size: 32
    .workgroup_processor_mode: 1
amdhsa.target:   amdgcn-amd-amdhsa--gfx1201
amdhsa.version:
  - 1
  - 2
...

	.end_amdgpu_metadata
